;; amdgpu-corpus repo=ROCm/rocFFT kind=compiled arch=gfx1100 opt=O3
	.text
	.amdgcn_target "amdgcn-amd-amdhsa--gfx1100"
	.amdhsa_code_object_version 6
	.protected	bluestein_single_back_len1904_dim1_dp_op_CI_CI ; -- Begin function bluestein_single_back_len1904_dim1_dp_op_CI_CI
	.globl	bluestein_single_back_len1904_dim1_dp_op_CI_CI
	.p2align	8
	.type	bluestein_single_back_len1904_dim1_dp_op_CI_CI,@function
bluestein_single_back_len1904_dim1_dp_op_CI_CI: ; @bluestein_single_back_len1904_dim1_dp_op_CI_CI
; %bb.0:
	s_load_b128 s[4:7], s[0:1], 0x28
	v_mul_u32_u24_e32 v1, 0x227, v0
	s_mov_b32 s2, exec_lo
	v_mov_b32_e32 v4, 0
	s_delay_alu instid0(VALU_DEP_2) | instskip(NEXT) | instid1(VALU_DEP_1)
	v_lshrrev_b32_e32 v1, 16, v1
	v_add_nc_u32_e32 v3, s15, v1
	s_delay_alu instid0(VALU_DEP_1)
	v_mov_b32_e32 v2, v3
	scratch_store_b64 off, v[2:3], off      ; 8-byte Folded Spill
	s_waitcnt lgkmcnt(0)
	v_cmpx_gt_u64_e64 s[4:5], v[3:4]
	s_cbranch_execz .LBB0_23
; %bb.1:
	v_mul_lo_u16 v1, 0x77, v1
	s_clause 0x1
	s_load_b64 s[12:13], s[0:1], 0x0
	s_load_b64 s[14:15], s[0:1], 0x38
	s_delay_alu instid0(VALU_DEP_1) | instskip(NEXT) | instid1(VALU_DEP_1)
	v_sub_nc_u16 v0, v0, v1
	v_and_b32_e32 v246, 0xffff, v0
	v_cmp_gt_u16_e32 vcc_lo, 0x70, v0
	s_delay_alu instid0(VALU_DEP_2)
	v_lshlrev_b32_e32 v0, 4, v246
	scratch_store_b32 off, v0, off offset:508 ; 4-byte Folded Spill
	v_or_b32_e32 v0, 0x380, v246
	scratch_store_b32 off, v0, off offset:564 ; 4-byte Folded Spill
	v_or_b32_e32 v0, 0x700, v246
	scratch_store_b32 off, v0, off offset:560 ; 4-byte Folded Spill
	s_and_saveexec_b32 s3, vcc_lo
	s_cbranch_execz .LBB0_3
; %bb.2:
	s_load_b64 s[4:5], s[0:1], 0x18
	v_or_b32_e32 v56, 0x380, v246
	v_lshlrev_b32_e32 v108, 4, v246
	v_or_b32_e32 v57, 0x700, v246
	s_delay_alu instid0(VALU_DEP_3)
	v_lshlrev_b32_e32 v14, 4, v56
	s_waitcnt lgkmcnt(0)
	s_load_b128 s[8:11], s[4:5], 0x0
	s_clause 0x3
	global_load_b128 v[0:3], v108, s[12:13]
	global_load_b128 v[4:7], v108, s[12:13] offset:1792
	global_load_b128 v[8:11], v108, s[12:13] offset:3584
	global_load_b128 v[14:17], v14, s[12:13]
	scratch_load_b64 v[19:20], off, off     ; 8-byte Folded Reload
	s_waitcnt lgkmcnt(0)
	v_mad_u64_u32 v[48:49], null, s8, v246, 0
	s_mul_i32 s4, s9, 0x700
	s_mul_hi_u32 s5, s8, 0x700
	s_delay_alu instid0(SALU_CYCLE_1) | instskip(SKIP_1) | instid1(VALU_DEP_1)
	s_add_i32 s5, s5, s4
	s_waitcnt vmcnt(0)
	v_dual_mov_b32 v30, v49 :: v_dual_mov_b32 v23, v19
	v_add_co_u32 v12, s2, s12, v108
	s_delay_alu instid0(VALU_DEP_1) | instskip(NEXT) | instid1(VALU_DEP_3)
	v_add_co_ci_u32_e64 v13, null, s13, 0, s2
	v_mad_u64_u32 v[46:47], null, s10, v23, 0
	s_delay_alu instid0(VALU_DEP_3) | instskip(NEXT) | instid1(VALU_DEP_1)
	v_add_co_u32 v26, s2, 0x1000, v12
	v_add_co_ci_u32_e64 v27, s2, 0, v13, s2
	v_add_co_u32 v34, s2, 0x2000, v12
	s_delay_alu instid0(VALU_DEP_4) | instskip(SKIP_2) | instid1(VALU_DEP_3)
	v_mov_b32_e32 v22, v47
	v_add_co_ci_u32_e64 v35, s2, 0, v13, s2
	v_add_co_u32 v42, s2, 0x3000, v12
	v_mad_u64_u32 v[52:53], null, s11, v23, v[22:23]
	v_mad_u64_u32 v[53:54], null, s9, v246, v[30:31]
	v_add_co_ci_u32_e64 v43, s2, 0, v13, s2
	v_add_co_u32 v50, s2, 0x4000, v12
	s_delay_alu instid0(VALU_DEP_4) | instskip(SKIP_3) | instid1(VALU_DEP_4)
	v_mov_b32_e32 v47, v52
	v_add_co_ci_u32_e64 v51, s2, 0, v13, s2
	v_dual_mov_b32 v49, v53 :: v_dual_lshlrev_b32 v18, 4, v57
	v_add_co_u32 v58, s2, 0x5000, v12
	v_lshlrev_b64 v[46:47], 4, v[46:47]
	v_add_co_ci_u32_e64 v59, s2, 0, v13, s2
	v_add_co_u32 v12, s2, 0x6000, v12
	s_delay_alu instid0(VALU_DEP_1) | instskip(SKIP_2) | instid1(VALU_DEP_1)
	v_add_co_ci_u32_e64 v13, s2, 0, v13, s2
	v_lshlrev_b64 v[48:49], 4, v[48:49]
	v_add_co_u32 v60, s2, s6, v46
	v_add_co_ci_u32_e64 v61, s2, s7, v47, s2
	s_mul_i32 s10, s8, 0x700
	s_delay_alu instid0(VALU_DEP_2) | instskip(NEXT) | instid1(VALU_DEP_1)
	v_add_co_u32 v70, s2, v60, v48
	v_add_co_ci_u32_e64 v71, s2, v61, v49, s2
	v_mad_u64_u32 v[52:53], null, s8, v56, 0
	s_delay_alu instid0(VALU_DEP_3) | instskip(NEXT) | instid1(VALU_DEP_1)
	v_add_co_u32 v74, s2, v70, s10
	v_add_co_ci_u32_e64 v75, s2, s5, v71, s2
	v_mad_u64_u32 v[54:55], null, s8, v57, 0
	s_delay_alu instid0(VALU_DEP_3) | instskip(NEXT) | instid1(VALU_DEP_1)
	v_add_co_u32 v78, s2, v74, s10
	v_add_co_ci_u32_e64 v79, s2, s5, v75, s2
	global_load_b128 v[18:21], v18, s[12:13]
	v_add_co_u32 v82, s2, v78, s10
	s_delay_alu instid0(VALU_DEP_1) | instskip(SKIP_1) | instid1(VALU_DEP_3)
	v_add_co_ci_u32_e64 v83, s2, s5, v79, s2
	v_mov_b32_e32 v47, v55
	v_add_co_u32 v86, s2, v82, s10
	s_delay_alu instid0(VALU_DEP_1) | instskip(SKIP_4) | instid1(VALU_DEP_1)
	v_add_co_ci_u32_e64 v87, s2, s5, v83, s2
	s_clause 0x1
	global_load_b128 v[22:25], v[26:27], off offset:1280
	global_load_b128 v[26:29], v[26:27], off offset:3072
	v_add_co_u32 v90, s2, v86, s10
	v_add_co_ci_u32_e64 v91, s2, s5, v87, s2
	s_clause 0x3
	global_load_b128 v[30:33], v[34:35], off offset:768
	global_load_b128 v[34:37], v[34:35], off offset:2560
	;; [unrolled: 1-line block ×4, first 2 shown]
	v_add_co_u32 v94, s2, v90, s10
	s_delay_alu instid0(VALU_DEP_1) | instskip(NEXT) | instid1(VALU_DEP_2)
	v_add_co_ci_u32_e64 v95, s2, s5, v91, s2
	v_add_co_u32 v98, s2, v94, s10
	s_delay_alu instid0(VALU_DEP_1) | instskip(NEXT) | instid1(VALU_DEP_1)
	v_add_co_ci_u32_e64 v99, s2, s5, v95, s2
	v_mad_u64_u32 v[102:103], null, 0xe00, s8, v[98:99]
	s_delay_alu instid0(VALU_DEP_1) | instskip(NEXT) | instid1(VALU_DEP_1)
	v_mov_b32_e32 v68, v103
	v_mad_u64_u32 v[96:97], null, 0xe00, s9, v[68:69]
	s_delay_alu instid0(VALU_DEP_1) | instskip(NEXT) | instid1(VALU_DEP_1)
	v_dual_mov_b32 v46, v53 :: v_dual_mov_b32 v103, v96
	v_mad_u64_u32 v[48:49], null, s9, v56, v[46:47]
	s_delay_alu instid0(VALU_DEP_1) | instskip(SKIP_1) | instid1(VALU_DEP_1)
	v_mad_u64_u32 v[55:56], null, s9, v57, v[47:48]
	v_mov_b32_e32 v53, v48
	v_lshlrev_b64 v[56:57], 4, v[52:53]
	s_delay_alu instid0(VALU_DEP_3) | instskip(SKIP_4) | instid1(VALU_DEP_1)
	v_lshlrev_b64 v[54:55], 4, v[54:55]
	s_clause 0x1
	global_load_b128 v[46:49], v[50:51], off offset:1536
	global_load_b128 v[50:53], v[50:51], off offset:3328
	v_add_co_u32 v62, s2, v60, v56
	v_add_co_ci_u32_e64 v63, s2, v61, v57, s2
	v_add_co_u32 v66, s2, v60, v54
	s_delay_alu instid0(VALU_DEP_1) | instskip(SKIP_1) | instid1(VALU_DEP_1)
	v_add_co_ci_u32_e64 v67, s2, v61, v55, s2
	v_add_co_u32 v106, s2, v102, s10
	v_add_co_ci_u32_e64 v107, s2, s5, v103, s2
	s_clause 0x1
	global_load_b128 v[54:57], v[58:59], off offset:1024
	global_load_b128 v[58:61], v[58:59], off offset:2816
	global_load_b128 v[62:65], v[62:63], off
	v_add_co_u32 v113, s2, v106, s10
	s_delay_alu instid0(VALU_DEP_1)
	v_add_co_ci_u32_e64 v114, s2, s5, v107, s2
	s_clause 0x5
	global_load_b128 v[66:69], v[66:67], off
	global_load_b128 v[70:73], v[70:71], off
	;; [unrolled: 1-line block ×7, first 2 shown]
	v_add_co_u32 v117, s2, v113, s10
	s_delay_alu instid0(VALU_DEP_1) | instskip(SKIP_2) | instid1(VALU_DEP_1)
	v_add_co_ci_u32_e64 v118, s2, s5, v114, s2
	global_load_b128 v[109:112], v[106:107], off
	v_add_co_u32 v106, s2, v117, s10
	v_add_co_ci_u32_e64 v107, s2, s5, v118, s2
	global_load_b128 v[94:97], v[94:95], off
	global_load_b128 v[98:101], v[98:99], off
	v_add_co_u32 v125, s2, v106, s10
	global_load_b128 v[102:105], v[102:103], off
	v_add_co_ci_u32_e64 v126, s2, s5, v107, s2
	global_load_b128 v[113:116], v[113:114], off
	global_load_b128 v[117:120], v[117:118], off
	v_add_co_u32 v137, s2, v125, s10
	s_delay_alu instid0(VALU_DEP_1)
	v_add_co_ci_u32_e64 v138, s2, s5, v126, s2
	global_load_b128 v[121:124], v[106:107], off
	global_load_b128 v[125:128], v[125:126], off
	s_clause 0x1
	global_load_b128 v[129:132], v[12:13], off offset:512
	global_load_b128 v[133:136], v[12:13], off offset:2304
	global_load_b128 v[137:140], v[137:138], off
	s_waitcnt vmcnt(17)
	v_mul_f64 v[141:142], v[68:69], v[20:21]
	s_waitcnt vmcnt(16)
	v_mul_f64 v[12:13], v[72:73], v[2:3]
	v_mul_f64 v[2:3], v[70:71], v[2:3]
	;; [unrolled: 1-line block ×4, first 2 shown]
	s_waitcnt vmcnt(15)
	v_mul_f64 v[143:144], v[76:77], v[6:7]
	v_mul_f64 v[145:146], v[74:75], v[6:7]
	s_waitcnt vmcnt(14)
	v_mul_f64 v[147:148], v[80:81], v[10:11]
	v_mul_f64 v[149:150], v[78:79], v[10:11]
	;; [unrolled: 3-line block ×5, first 2 shown]
	s_waitcnt vmcnt(10)
	v_mul_f64 v[163:164], v[111:112], v[48:49]
	s_waitcnt vmcnt(9)
	v_mul_f64 v[157:158], v[96:97], v[36:37]
	v_mul_f64 v[36:37], v[94:95], v[36:37]
	s_waitcnt vmcnt(8)
	v_mul_f64 v[159:160], v[100:101], v[40:41]
	;; [unrolled: 3-line block ×3, first 2 shown]
	v_mul_f64 v[44:45], v[102:103], v[44:45]
	v_mul_f64 v[48:49], v[109:110], v[48:49]
	s_waitcnt vmcnt(6)
	v_mul_f64 v[165:166], v[115:116], v[52:53]
	v_mul_f64 v[52:53], v[113:114], v[52:53]
	s_waitcnt vmcnt(5)
	;; [unrolled: 3-line block ×5, first 2 shown]
	v_mul_f64 v[175:176], v[139:140], v[135:136]
	v_mul_f64 v[135:136], v[137:138], v[135:136]
	;; [unrolled: 1-line block ×3, first 2 shown]
	v_fma_f64 v[6:7], v[66:67], v[18:19], v[141:142]
	v_fma_f64 v[10:11], v[70:71], v[0:1], v[12:13]
	v_fma_f64 v[12:13], v[72:73], v[0:1], -v[2:3]
	v_fma_f64 v[0:1], v[62:63], v[14:15], v[106:107]
	v_fma_f64 v[2:3], v[64:65], v[14:15], -v[16:17]
	;; [unrolled: 2-line block ×16, first 2 shown]
	v_fma_f64 v[8:9], v[68:69], v[18:19], -v[177:178]
	ds_store_b128 v108, v[10:13]
	ds_store_b128 v108, v[14:17] offset:1792
	ds_store_b128 v108, v[60:63] offset:3584
	;; [unrolled: 1-line block ×16, first 2 shown]
.LBB0_3:
	s_or_b32 exec_lo, exec_lo, s3
	s_clause 0x1
	s_load_b64 s[4:5], s[0:1], 0x20
	s_load_b64 s[2:3], s[0:1], 0x8
	s_waitcnt lgkmcnt(0)
	s_waitcnt_vscnt null, 0x0
	s_barrier
	buffer_gl0_inv
                                        ; implicit-def: $vgpr0_vgpr1
                                        ; implicit-def: $vgpr60_vgpr61
                                        ; implicit-def: $vgpr56_vgpr57
                                        ; implicit-def: $vgpr44_vgpr45
                                        ; implicit-def: $vgpr40_vgpr41
                                        ; implicit-def: $vgpr24_vgpr25
                                        ; implicit-def: $vgpr20_vgpr21
                                        ; implicit-def: $vgpr8_vgpr9
                                        ; implicit-def: $vgpr4_vgpr5
                                        ; implicit-def: $vgpr12_vgpr13
                                        ; implicit-def: $vgpr16_vgpr17
                                        ; implicit-def: $vgpr28_vgpr29
                                        ; implicit-def: $vgpr36_vgpr37
                                        ; implicit-def: $vgpr48_vgpr49
                                        ; implicit-def: $vgpr52_vgpr53
                                        ; implicit-def: $vgpr64_vgpr65
                                        ; implicit-def: $vgpr68_vgpr69
	s_and_saveexec_b32 s0, vcc_lo
	s_cbranch_execz .LBB0_5
; %bb.4:
	v_lshlrev_b32_e32 v4, 4, v246
	ds_load_b128 v[0:3], v4
	ds_load_b128 v[68:71], v4 offset:1792
	ds_load_b128 v[64:67], v4 offset:3584
	;; [unrolled: 1-line block ×16, first 2 shown]
.LBB0_5:
	s_or_b32 exec_lo, exec_lo, s0
	s_waitcnt lgkmcnt(0)
	v_add_f64 v[158:159], v[70:71], -v[6:7]
	v_add_f64 v[162:163], v[68:69], -v[4:5]
	s_mov_b32 s0, 0x5d8e7cdc
	s_mov_b32 s1, 0xbfd71e95
	v_add_f64 v[152:153], v[4:5], v[68:69]
	v_add_f64 v[164:165], v[6:7], v[70:71]
	v_add_f64 v[98:99], v[66:67], -v[10:11]
	v_add_f64 v[72:73], v[64:65], -v[8:9]
	s_mov_b32 s6, 0x370991
	s_mov_b32 s10, 0x2a9d6da3
	s_mov_b32 s7, 0x3fedd6d0
	s_mov_b32 s11, 0xbfe58eea
	v_add_f64 v[74:75], v[8:9], v[64:65]
	v_add_f64 v[102:103], v[10:11], v[66:67]
	v_add_f64 v[104:105], v[62:63], -v[14:15]
	v_add_f64 v[76:77], v[60:61], -v[12:13]
	s_mov_b32 s18, 0x75d4884
	s_mov_b32 s8, 0x7c9e640b
	;; [unrolled: 8-line block ×4, first 2 shown]
	s_mov_b32 s23, 0x3fb79ee6
	s_mov_b32 s21, 0xbfeec746
	v_add_f64 v[114:115], v[22:23], v[54:55]
	v_add_f64 v[116:117], v[50:51], -v[26:27]
	v_mul_f64 v[160:161], v[158:159], s[0:1]
	v_mul_f64 v[166:167], v[162:163], s[0:1]
	s_mov_b32 s24, 0xc61f0d01
	s_mov_b32 s34, 0x6c9a05f6
	s_mov_b32 s25, 0xbfd183b1
	s_mov_b32 s35, 0xbfe9895b
	v_mul_f64 v[128:129], v[98:99], s[10:11]
	v_mul_f64 v[130:131], v[72:73], s[10:11]
	v_add_f64 v[118:119], v[26:27], v[50:51]
	v_add_f64 v[120:121], v[46:47], -v[30:31]
	s_mov_b32 s30, 0x6ed5f1bb
	s_mov_b32 s28, 0x4363dd80
	;; [unrolled: 1-line block ×4, first 2 shown]
	v_mul_f64 v[132:133], v[104:105], s[8:9]
	v_mul_f64 v[134:135], v[76:77], s[8:9]
	v_add_f64 v[122:123], v[46:47], v[30:31]
	v_add_f64 v[124:125], v[42:43], -v[38:39]
	s_mov_b32 s36, 0x910ea3b9
	s_mov_b32 s40, 0xacd6c6b4
	;; [unrolled: 1-line block ×4, first 2 shown]
	v_mul_f64 v[138:139], v[80:81], s[26:27]
	v_mul_f64 v[136:137], v[168:169], s[26:27]
	s_mov_b32 s38, 0x7faef3
	s_mov_b32 s39, 0xbfef7484
	s_barrier
	buffer_gl0_inv
	v_mul_f64 v[142:143], v[84:85], s[20:21]
	v_mul_f64 v[140:141], v[112:113], s[20:21]
	;; [unrolled: 1-line block ×3, first 2 shown]
	v_fma_f64 v[32:33], v[152:153], s[6:7], v[160:161]
	v_fma_f64 v[34:35], v[164:165], s[6:7], -v[166:167]
	v_fma_f64 v[86:87], v[74:75], s[18:19], v[128:129]
	v_fma_f64 v[88:89], v[102:103], s[18:19], -v[130:131]
	v_mul_f64 v[148:149], v[120:121], s[28:29]
	v_fma_f64 v[90:91], v[78:79], s[16:17], v[132:133]
	v_fma_f64 v[92:93], v[106:107], s[16:17], -v[134:135]
	v_mul_f64 v[154:155], v[124:125], s[40:41]
	v_fma_f64 v[96:97], v[110:111], s[22:23], -v[138:139]
	v_fma_f64 v[94:95], v[82:83], s[22:23], v[136:137]
	v_fma_f64 v[126:127], v[114:115], s[24:25], -v[142:143]
	v_add_f64 v[32:33], v[0:1], v[32:33]
	v_add_f64 v[34:35], v[2:3], v[34:35]
	s_delay_alu instid0(VALU_DEP_2) | instskip(NEXT) | instid1(VALU_DEP_2)
	v_add_f64 v[32:33], v[86:87], v[32:33]
	v_add_f64 v[34:35], v[88:89], v[34:35]
	;; [unrolled: 1-line block ×3, first 2 shown]
	v_add_f64 v[88:89], v[48:49], -v[24:25]
	s_delay_alu instid0(VALU_DEP_4) | instskip(NEXT) | instid1(VALU_DEP_4)
	v_add_f64 v[32:33], v[90:91], v[32:33]
	v_add_f64 v[34:35], v[92:93], v[34:35]
	v_add_f64 v[90:91], v[24:25], v[48:49]
	v_add_f64 v[92:93], v[44:45], -v[28:29]
	v_mul_f64 v[146:147], v[88:89], s[34:35]
	v_fma_f64 v[100:101], v[86:87], s[24:25], v[140:141]
	v_add_f64 v[32:33], v[94:95], v[32:33]
	v_add_f64 v[34:35], v[96:97], v[34:35]
	;; [unrolled: 1-line block ×3, first 2 shown]
	v_add_f64 v[96:97], v[40:41], -v[36:37]
	v_mul_f64 v[150:151], v[92:93], s[28:29]
	v_fma_f64 v[170:171], v[90:91], s[30:31], v[144:145]
	v_fma_f64 v[172:173], v[118:119], s[30:31], -v[146:147]
	v_add_f64 v[32:33], v[100:101], v[32:33]
	v_add_f64 v[34:35], v[126:127], v[34:35]
	;; [unrolled: 1-line block ×4, first 2 shown]
	v_mul_f64 v[156:157], v[96:97], s[40:41]
	v_fma_f64 v[174:175], v[94:95], s[36:37], v[148:149]
	v_fma_f64 v[176:177], v[122:123], s[36:37], -v[150:151]
	v_add_f64 v[32:33], v[170:171], v[32:33]
	v_add_f64 v[34:35], v[172:173], v[34:35]
	v_fma_f64 v[170:171], v[100:101], s[38:39], v[154:155]
	v_fma_f64 v[172:173], v[126:127], s[38:39], -v[156:157]
	s_delay_alu instid0(VALU_DEP_4) | instskip(NEXT) | instid1(VALU_DEP_4)
	v_add_f64 v[32:33], v[174:175], v[32:33]
	v_add_f64 v[34:35], v[176:177], v[34:35]
	s_delay_alu instid0(VALU_DEP_2) | instskip(NEXT) | instid1(VALU_DEP_2)
	v_add_f64 v[32:33], v[170:171], v[32:33]
	v_add_f64 v[34:35], v[172:173], v[34:35]
	s_and_saveexec_b32 s33, vcc_lo
	s_cbranch_execz .LBB0_7
; %bb.6:
	v_add_f64 v[68:69], v[0:1], v[68:69]
	v_add_f64 v[70:71], v[2:3], v[70:71]
	s_mov_b32 s45, 0x3fe9895b
	s_mov_b32 s44, s34
	;; [unrolled: 1-line block ×16, first 2 shown]
	v_mul_f64 v[180:181], v[126:127], s[22:23]
	v_mul_f64 v[182:183], v[124:125], s[48:49]
	;; [unrolled: 1-line block ×20, first 2 shown]
	v_add_f64 v[64:65], v[64:65], v[68:69]
	v_add_f64 v[66:67], v[66:67], v[70:71]
	v_mul_f64 v[70:71], v[152:153], s[6:7]
	v_mul_f64 v[220:221], v[124:125], s[54:55]
	;; [unrolled: 1-line block ×14, first 2 shown]
	v_add_f64 v[60:61], v[60:61], v[64:65]
	v_add_f64 v[62:63], v[62:63], v[66:67]
	v_add_f64 v[70:71], v[70:71], -v[160:161]
	s_delay_alu instid0(VALU_DEP_3) | instskip(NEXT) | instid1(VALU_DEP_3)
	v_add_f64 v[56:57], v[56:57], v[60:61]
	v_add_f64 v[58:59], v[58:59], v[62:63]
	s_delay_alu instid0(VALU_DEP_2) | instskip(NEXT) | instid1(VALU_DEP_2)
	v_add_f64 v[52:53], v[52:53], v[56:57]
	v_add_f64 v[54:55], v[54:55], v[58:59]
	s_delay_alu instid0(VALU_DEP_2) | instskip(NEXT) | instid1(VALU_DEP_2)
	v_add_f64 v[48:49], v[48:49], v[52:53]
	v_add_f64 v[50:51], v[50:51], v[54:55]
	v_mul_f64 v[52:53], v[158:159], s[8:9]
	v_mul_f64 v[54:55], v[158:159], s[10:11]
	s_delay_alu instid0(VALU_DEP_4) | instskip(NEXT) | instid1(VALU_DEP_4)
	v_add_f64 v[44:45], v[44:45], v[48:49]
	v_add_f64 v[46:47], v[46:47], v[50:51]
	v_mul_f64 v[48:49], v[158:159], s[20:21]
	v_mul_f64 v[50:51], v[158:159], s[26:27]
	v_fma_f64 v[66:67], v[152:153], s[16:17], v[52:53]
	v_fma_f64 v[52:53], v[152:153], s[16:17], -v[52:53]
	v_fma_f64 v[68:69], v[152:153], s[18:19], v[54:55]
	v_fma_f64 v[54:55], v[152:153], s[18:19], -v[54:55]
	v_add_f64 v[40:41], v[40:41], v[44:45]
	v_add_f64 v[42:43], v[42:43], v[46:47]
	v_mul_f64 v[44:45], v[158:159], s[28:29]
	v_mul_f64 v[46:47], v[158:159], s[34:35]
	v_fma_f64 v[62:63], v[152:153], s[24:25], v[48:49]
	v_fma_f64 v[48:49], v[152:153], s[24:25], -v[48:49]
	v_fma_f64 v[64:65], v[152:153], s[22:23], v[50:51]
	v_fma_f64 v[50:51], v[152:153], s[22:23], -v[50:51]
	v_add_f64 v[66:67], v[0:1], v[66:67]
	v_add_f64 v[52:53], v[0:1], v[52:53]
	;; [unrolled: 1-line block ×4, first 2 shown]
	v_mul_f64 v[42:43], v[158:159], s[40:41]
	v_fma_f64 v[58:59], v[152:153], s[36:37], v[44:45]
	v_fma_f64 v[44:45], v[152:153], s[36:37], -v[44:45]
	v_fma_f64 v[60:61], v[152:153], s[30:31], v[46:47]
	v_fma_f64 v[46:47], v[152:153], s[30:31], -v[46:47]
	v_mul_f64 v[40:41], v[164:165], s[6:7]
	v_add_f64 v[62:63], v[0:1], v[62:63]
	v_add_f64 v[48:49], v[0:1], v[48:49]
	v_add_f64 v[64:65], v[0:1], v[64:65]
	v_add_f64 v[50:51], v[0:1], v[50:51]
	v_add_f64 v[28:29], v[28:29], v[36:37]
	v_add_f64 v[30:31], v[30:31], v[38:39]
	v_mul_f64 v[36:37], v[164:165], s[18:19]
	v_fma_f64 v[56:57], v[152:153], s[38:39], v[42:43]
	v_fma_f64 v[42:43], v[152:153], s[38:39], -v[42:43]
	v_add_f64 v[58:59], v[0:1], v[58:59]
	v_add_f64 v[44:45], v[0:1], v[44:45]
	;; [unrolled: 1-line block ×6, first 2 shown]
	v_mul_f64 v[28:29], v[164:165], s[16:17]
	v_fma_f64 v[38:39], v[162:163], s[54:55], v[36:37]
	v_fma_f64 v[36:37], v[162:163], s[10:11], v[36:37]
	v_add_f64 v[56:57], v[0:1], v[56:57]
	v_add_f64 v[42:43], v[0:1], v[42:43]
	;; [unrolled: 1-line block ×4, first 2 shown]
	v_mul_f64 v[24:25], v[164:165], s[22:23]
	v_fma_f64 v[30:31], v[162:163], s[50:51], v[28:29]
	v_fma_f64 v[28:29], v[162:163], s[8:9], v[28:29]
	v_add_f64 v[16:17], v[16:17], v[20:21]
	v_add_f64 v[18:19], v[18:19], v[22:23]
	v_mul_f64 v[20:21], v[164:165], s[24:25]
	v_fma_f64 v[26:27], v[162:163], s[48:49], v[24:25]
	v_fma_f64 v[24:25], v[162:163], s[26:27], v[24:25]
	v_add_f64 v[174:175], v[2:3], v[30:31]
	v_add_f64 v[30:31], v[0:1], v[54:55]
	;; [unrolled: 1-line block ×6, first 2 shown]
	v_mul_f64 v[16:17], v[164:165], s[30:31]
	v_fma_f64 v[22:23], v[162:163], s[56:57], v[20:21]
	v_fma_f64 v[20:21], v[162:163], s[20:21], v[20:21]
	v_add_f64 v[170:171], v[2:3], v[26:27]
	v_add_f64 v[26:27], v[0:1], v[70:71]
	;; [unrolled: 1-line block ×6, first 2 shown]
	v_mul_f64 v[12:13], v[164:165], s[36:37]
	v_fma_f64 v[18:19], v[162:163], s[44:45], v[16:17]
	v_fma_f64 v[16:17], v[162:163], s[34:35], v[16:17]
	v_add_f64 v[166:167], v[2:3], v[22:23]
	v_add_f64 v[4:5], v[4:5], v[8:9]
	v_mul_f64 v[8:9], v[164:165], s[38:39]
	v_add_f64 v[6:7], v[6:7], v[10:11]
	v_fma_f64 v[14:15], v[162:163], s[46:47], v[12:13]
	v_fma_f64 v[12:13], v[162:163], s[28:29], v[12:13]
	v_add_f64 v[160:161], v[2:3], v[18:19]
	v_add_f64 v[164:165], v[0:1], v[46:47]
	v_mul_f64 v[18:19], v[106:107], s[36:37]
	v_add_f64 v[46:47], v[2:3], v[20:21]
	v_fma_f64 v[10:11], v[162:163], s[42:43], v[8:9]
	v_fma_f64 v[8:9], v[162:163], s[40:41], v[8:9]
	v_add_f64 v[162:163], v[2:3], v[16:17]
	v_mul_f64 v[16:17], v[102:103], s[6:7]
	v_add_f64 v[158:159], v[2:3], v[12:13]
	v_add_f64 v[12:13], v[0:1], v[68:69]
	v_fma_f64 v[20:21], v[76:77], s[46:47], v[18:19]
	v_add_f64 v[152:153], v[2:3], v[14:15]
	v_add_f64 v[14:15], v[2:3], v[38:39]
	;; [unrolled: 1-line block ×4, first 2 shown]
	v_fma_f64 v[0:1], v[72:73], s[0:1], v[16:17]
	v_fma_f64 v[16:17], v[72:73], s[52:53], v[16:17]
	s_delay_alu instid0(VALU_DEP_2) | instskip(SKIP_1) | instid1(VALU_DEP_3)
	v_add_f64 v[0:1], v[0:1], v[10:11]
	v_mul_f64 v[10:11], v[98:99], s[52:53]
	v_add_f64 v[8:9], v[16:17], v[8:9]
	v_fma_f64 v[16:17], v[76:77], s[28:29], v[18:19]
	v_fma_f64 v[18:19], v[100:101], s[22:23], -v[182:183]
	v_add_f64 v[0:1], v[20:21], v[0:1]
	v_fma_f64 v[2:3], v[74:75], s[6:7], v[10:11]
	v_mul_f64 v[20:21], v[104:105], s[28:29]
	v_fma_f64 v[10:11], v[74:75], s[6:7], -v[10:11]
	v_add_f64 v[8:9], v[16:17], v[8:9]
	s_delay_alu instid0(VALU_DEP_4) | instskip(NEXT) | instid1(VALU_DEP_4)
	v_add_f64 v[2:3], v[2:3], v[56:57]
	v_fma_f64 v[22:23], v[78:79], s[36:37], v[20:21]
	s_delay_alu instid0(VALU_DEP_4) | instskip(SKIP_2) | instid1(VALU_DEP_4)
	v_add_f64 v[10:11], v[10:11], v[42:43]
	v_fma_f64 v[16:17], v[78:79], s[36:37], -v[20:21]
	v_mul_f64 v[20:21], v[102:103], s[16:17]
	v_add_f64 v[2:3], v[22:23], v[2:3]
	v_mul_f64 v[22:23], v[110:111], s[18:19]
	s_delay_alu instid0(VALU_DEP_4) | instskip(NEXT) | instid1(VALU_DEP_2)
	v_add_f64 v[10:11], v[16:17], v[10:11]
	v_fma_f64 v[36:37], v[80:81], s[10:11], v[22:23]
	v_fma_f64 v[16:17], v[80:81], s[54:55], v[22:23]
	v_mul_f64 v[22:23], v[98:99], s[50:51]
	s_delay_alu instid0(VALU_DEP_3) | instskip(SKIP_1) | instid1(VALU_DEP_4)
	v_add_f64 v[0:1], v[36:37], v[0:1]
	v_mul_f64 v[36:37], v[168:169], s[54:55]
	v_add_f64 v[8:9], v[16:17], v[8:9]
	s_delay_alu instid0(VALU_DEP_2) | instskip(SKIP_2) | instid1(VALU_DEP_3)
	v_fma_f64 v[38:39], v[82:83], s[18:19], v[36:37]
	v_fma_f64 v[16:17], v[82:83], s[18:19], -v[36:37]
	v_mul_f64 v[36:37], v[106:107], s[22:23]
	v_add_f64 v[2:3], v[38:39], v[2:3]
	v_mul_f64 v[38:39], v[114:115], s[30:31]
	s_delay_alu instid0(VALU_DEP_4) | instskip(NEXT) | instid1(VALU_DEP_2)
	v_add_f64 v[10:11], v[16:17], v[10:11]
	v_fma_f64 v[40:41], v[84:85], s[44:45], v[38:39]
	v_fma_f64 v[16:17], v[84:85], s[34:35], v[38:39]
	;; [unrolled: 1-line block ×4, first 2 shown]
	s_delay_alu instid0(VALU_DEP_4) | instskip(SKIP_2) | instid1(VALU_DEP_2)
	v_add_f64 v[0:1], v[40:41], v[0:1]
	v_mul_f64 v[40:41], v[112:113], s[34:35]
	v_add_f64 v[8:9], v[16:17], v[8:9]
	v_fma_f64 v[54:55], v[86:87], s[30:31], v[40:41]
	v_fma_f64 v[16:17], v[86:87], s[30:31], -v[40:41]
	s_delay_alu instid0(VALU_DEP_2) | instskip(SKIP_1) | instid1(VALU_DEP_3)
	v_add_f64 v[2:3], v[54:55], v[2:3]
	v_mul_f64 v[54:55], v[118:119], s[16:17]
	v_add_f64 v[10:11], v[16:17], v[10:11]
	s_delay_alu instid0(VALU_DEP_2) | instskip(SKIP_1) | instid1(VALU_DEP_2)
	v_fma_f64 v[56:57], v[88:89], s[8:9], v[54:55]
	v_fma_f64 v[16:17], v[88:89], s[50:51], v[54:55]
	v_add_f64 v[0:1], v[56:57], v[0:1]
	v_mul_f64 v[56:57], v[116:117], s[50:51]
	s_delay_alu instid0(VALU_DEP_3) | instskip(NEXT) | instid1(VALU_DEP_2)
	v_add_f64 v[8:9], v[16:17], v[8:9]
	v_fma_f64 v[68:69], v[90:91], s[16:17], v[56:57]
	v_fma_f64 v[16:17], v[90:91], s[16:17], -v[56:57]
	s_delay_alu instid0(VALU_DEP_2) | instskip(SKIP_1) | instid1(VALU_DEP_3)
	v_add_f64 v[2:3], v[68:69], v[2:3]
	v_mul_f64 v[68:69], v[122:123], s[24:25]
	v_add_f64 v[10:11], v[16:17], v[10:11]
	s_delay_alu instid0(VALU_DEP_2) | instskip(SKIP_1) | instid1(VALU_DEP_2)
	v_fma_f64 v[70:71], v[92:93], s[56:57], v[68:69]
	v_fma_f64 v[16:17], v[92:93], s[20:21], v[68:69]
	v_add_f64 v[0:1], v[70:71], v[0:1]
	v_mul_f64 v[70:71], v[120:121], s[20:21]
	s_delay_alu instid0(VALU_DEP_3) | instskip(NEXT) | instid1(VALU_DEP_2)
	v_add_f64 v[8:9], v[16:17], v[8:9]
	v_fma_f64 v[16:17], v[94:95], s[24:25], -v[70:71]
	v_fma_f64 v[178:179], v[94:95], s[24:25], v[70:71]
	s_delay_alu instid0(VALU_DEP_2) | instskip(SKIP_1) | instid1(VALU_DEP_3)
	v_add_f64 v[16:17], v[16:17], v[10:11]
	v_fma_f64 v[10:11], v[96:97], s[48:49], v[180:181]
	v_add_f64 v[178:179], v[178:179], v[2:3]
	v_fma_f64 v[2:3], v[96:97], s[26:27], v[180:181]
	v_mul_f64 v[180:181], v[126:127], s[24:25]
	s_delay_alu instid0(VALU_DEP_4)
	v_add_f64 v[10:11], v[10:11], v[8:9]
	v_add_f64 v[8:9], v[18:19], v[16:17]
	v_fma_f64 v[16:17], v[72:73], s[8:9], v[20:21]
	v_fma_f64 v[18:19], v[74:75], s[16:17], v[22:23]
	v_fma_f64 v[20:21], v[72:73], s[50:51], v[20:21]
	v_fma_f64 v[22:23], v[74:75], s[16:17], -v[22:23]
	v_add_f64 v[2:3], v[2:3], v[0:1]
	v_fma_f64 v[0:1], v[100:101], s[22:23], v[182:183]
	v_mul_f64 v[182:183], v[124:125], s[20:21]
	v_add_f64 v[16:17], v[16:17], v[152:153]
	v_add_f64 v[18:19], v[18:19], v[58:59]
	;; [unrolled: 1-line block ×4, first 2 shown]
	v_mul_f64 v[44:45], v[110:111], s[22:23]
	v_add_f64 v[0:1], v[0:1], v[178:179]
	v_mul_f64 v[158:159], v[104:105], s[42:43]
	v_add_f64 v[16:17], v[38:39], v[16:17]
	;; [unrolled: 2-line block ×3, first 2 shown]
	v_add_f64 v[44:45], v[138:139], v[44:45]
	v_mul_f64 v[138:139], v[112:113], s[46:47]
	s_delay_alu instid0(VALU_DEP_4) | instskip(SKIP_2) | instid1(VALU_DEP_3)
	v_fma_f64 v[40:41], v[78:79], s[22:23], v[38:39]
	v_fma_f64 v[36:37], v[78:79], s[22:23], -v[38:39]
	v_fma_f64 v[38:39], v[100:101], s[24:25], -v[182:183]
	v_add_f64 v[18:19], v[40:41], v[18:19]
	v_mul_f64 v[40:41], v[110:111], s[30:31]
	s_delay_alu instid0(VALU_DEP_4) | instskip(NEXT) | instid1(VALU_DEP_2)
	v_add_f64 v[22:23], v[36:37], v[22:23]
	v_fma_f64 v[42:43], v[80:81], s[34:35], v[40:41]
	v_fma_f64 v[36:37], v[80:81], s[44:45], v[40:41]
	v_mul_f64 v[40:41], v[106:107], s[16:17]
	s_delay_alu instid0(VALU_DEP_3) | instskip(SKIP_1) | instid1(VALU_DEP_4)
	v_add_f64 v[16:17], v[42:43], v[16:17]
	v_mul_f64 v[42:43], v[168:169], s[44:45]
	v_add_f64 v[20:21], v[36:37], v[20:21]
	s_delay_alu instid0(VALU_DEP_4) | instskip(SKIP_1) | instid1(VALU_DEP_4)
	v_add_f64 v[40:41], v[134:135], v[40:41]
	v_mul_f64 v[134:135], v[168:169], s[40:41]
	v_fma_f64 v[54:55], v[82:83], s[30:31], v[42:43]
	v_fma_f64 v[36:37], v[82:83], s[30:31], -v[42:43]
	v_mul_f64 v[42:43], v[78:79], s[16:17]
	s_delay_alu instid0(VALU_DEP_3) | instskip(SKIP_1) | instid1(VALU_DEP_4)
	v_add_f64 v[18:19], v[54:55], v[18:19]
	v_mul_f64 v[54:55], v[114:115], s[6:7]
	v_add_f64 v[22:23], v[36:37], v[22:23]
	s_delay_alu instid0(VALU_DEP_4) | instskip(SKIP_1) | instid1(VALU_DEP_4)
	v_add_f64 v[42:43], v[42:43], -v[132:133]
	v_mul_f64 v[132:133], v[110:111], s[38:39]
	v_fma_f64 v[56:57], v[84:85], s[52:53], v[54:55]
	v_fma_f64 v[36:37], v[84:85], s[0:1], v[54:55]
	v_mul_f64 v[54:55], v[82:83], s[22:23]
	s_delay_alu instid0(VALU_DEP_3) | instskip(SKIP_1) | instid1(VALU_DEP_4)
	v_add_f64 v[16:17], v[56:57], v[16:17]
	v_mul_f64 v[56:57], v[112:113], s[0:1]
	v_add_f64 v[20:21], v[36:37], v[20:21]
	s_delay_alu instid0(VALU_DEP_4) | instskip(SKIP_1) | instid1(VALU_DEP_4)
	v_add_f64 v[54:55], v[54:55], -v[136:137]
	v_mul_f64 v[136:137], v[114:115], s[36:37]
	v_fma_f64 v[58:59], v[86:87], s[6:7], v[56:57]
	v_fma_f64 v[36:37], v[86:87], s[6:7], -v[56:57]
	v_mul_f64 v[56:57], v[114:115], s[24:25]
	s_delay_alu instid0(VALU_DEP_3) | instskip(SKIP_1) | instid1(VALU_DEP_4)
	v_add_f64 v[18:19], v[58:59], v[18:19]
	v_mul_f64 v[58:59], v[118:119], s[38:39]
	v_add_f64 v[22:23], v[36:37], v[22:23]
	s_delay_alu instid0(VALU_DEP_4) | instskip(SKIP_1) | instid1(VALU_DEP_4)
	v_add_f64 v[56:57], v[142:143], v[56:57]
	v_mul_f64 v[142:143], v[116:117], s[56:57]
	v_fma_f64 v[68:69], v[88:89], s[42:43], v[58:59]
	v_fma_f64 v[36:37], v[88:89], s[40:41], v[58:59]
	v_mul_f64 v[58:59], v[86:87], s[24:25]
	s_delay_alu instid0(VALU_DEP_3) | instskip(SKIP_1) | instid1(VALU_DEP_4)
	v_add_f64 v[16:17], v[68:69], v[16:17]
	v_mul_f64 v[68:69], v[116:117], s[40:41]
	v_add_f64 v[20:21], v[36:37], v[20:21]
	s_delay_alu instid0(VALU_DEP_4) | instskip(SKIP_1) | instid1(VALU_DEP_4)
	v_add_f64 v[58:59], v[58:59], -v[140:141]
	v_mul_f64 v[140:141], v[118:119], s[24:25]
	v_fma_f64 v[70:71], v[90:91], s[38:39], v[68:69]
	v_fma_f64 v[36:37], v[90:91], s[38:39], -v[68:69]
	v_mul_f64 v[68:69], v[118:119], s[30:31]
	s_delay_alu instid0(VALU_DEP_3) | instskip(SKIP_1) | instid1(VALU_DEP_4)
	v_add_f64 v[18:19], v[70:71], v[18:19]
	v_mul_f64 v[70:71], v[122:123], s[18:19]
	v_add_f64 v[22:23], v[36:37], v[22:23]
	s_delay_alu instid0(VALU_DEP_4) | instskip(SKIP_1) | instid1(VALU_DEP_4)
	v_add_f64 v[68:69], v[146:147], v[68:69]
	v_mul_f64 v[146:147], v[120:121], s[50:51]
	v_fma_f64 v[152:153], v[92:93], s[10:11], v[70:71]
	v_fma_f64 v[36:37], v[92:93], s[54:55], v[70:71]
	v_mul_f64 v[70:71], v[98:99], s[26:27]
	s_delay_alu instid0(VALU_DEP_3) | instskip(SKIP_1) | instid1(VALU_DEP_4)
	v_add_f64 v[16:17], v[152:153], v[16:17]
	v_mul_f64 v[152:153], v[120:121], s[54:55]
	v_add_f64 v[20:21], v[36:37], v[20:21]
	s_delay_alu instid0(VALU_DEP_2) | instskip(SKIP_2) | instid1(VALU_DEP_3)
	v_fma_f64 v[36:37], v[94:95], s[18:19], -v[152:153]
	v_fma_f64 v[178:179], v[94:95], s[18:19], v[152:153]
	v_mul_f64 v[152:153], v[102:103], s[30:31]
	v_add_f64 v[36:37], v[36:37], v[22:23]
	v_fma_f64 v[22:23], v[96:97], s[20:21], v[180:181]
	s_delay_alu instid0(VALU_DEP_4) | instskip(SKIP_2) | instid1(VALU_DEP_4)
	v_add_f64 v[178:179], v[178:179], v[18:19]
	v_fma_f64 v[18:19], v[96:97], s[56:57], v[180:181]
	v_mul_f64 v[180:181], v[114:115], s[18:19]
	v_add_f64 v[22:23], v[22:23], v[20:21]
	v_add_f64 v[20:21], v[38:39], v[36:37]
	v_mul_f64 v[36:37], v[102:103], s[18:19]
	v_mul_f64 v[38:39], v[74:75], s[18:19]
	v_add_f64 v[18:19], v[18:19], v[16:17]
	v_fma_f64 v[16:17], v[100:101], s[24:25], v[182:183]
	v_mul_f64 v[182:183], v[112:113], s[54:55]
	v_add_f64 v[36:37], v[130:131], v[36:37]
	v_add_f64 v[38:39], v[38:39], -v[128:129]
	v_mul_f64 v[128:129], v[106:107], s[30:31]
	v_mul_f64 v[130:131], v[104:105], s[34:35]
	v_add_f64 v[16:17], v[16:17], v[178:179]
	v_mul_f64 v[178:179], v[168:169], s[56:57]
	v_add_f64 v[24:25], v[36:37], v[24:25]
	v_add_f64 v[26:27], v[38:39], v[26:27]
	v_mul_f64 v[36:37], v[90:91], s[30:31]
	v_mul_f64 v[38:39], v[122:123], s[36:37]
	s_delay_alu instid0(VALU_DEP_4) | instskip(NEXT) | instid1(VALU_DEP_4)
	v_add_f64 v[24:25], v[40:41], v[24:25]
	v_add_f64 v[26:27], v[42:43], v[26:27]
	s_delay_alu instid0(VALU_DEP_4)
	v_add_f64 v[36:37], v[36:37], -v[144:145]
	v_mul_f64 v[40:41], v[94:95], s[36:37]
	v_add_f64 v[38:39], v[150:151], v[38:39]
	v_mul_f64 v[42:43], v[126:127], s[38:39]
	v_mul_f64 v[144:145], v[122:123], s[16:17]
	;; [unrolled: 1-line block ×3, first 2 shown]
	v_add_f64 v[24:25], v[44:45], v[24:25]
	v_add_f64 v[26:27], v[54:55], v[26:27]
	v_fma_f64 v[44:45], v[76:77], s[56:57], v[198:199]
	v_add_f64 v[40:41], v[40:41], -v[148:149]
	v_mul_f64 v[148:149], v[126:127], s[6:7]
	v_add_f64 v[42:43], v[156:157], v[42:43]
	v_mul_f64 v[156:157], v[106:107], s[38:39]
	v_mul_f64 v[54:55], v[98:99], s[56:57]
	;; [unrolled: 1-line block ×3, first 2 shown]
	v_add_f64 v[24:25], v[56:57], v[24:25]
	v_add_f64 v[26:27], v[58:59], v[26:27]
	v_mul_f64 v[56:57], v[102:103], s[36:37]
	v_mul_f64 v[58:59], v[98:99], s[46:47]
	s_delay_alu instid0(VALU_DEP_4) | instskip(NEXT) | instid1(VALU_DEP_4)
	v_add_f64 v[24:25], v[68:69], v[24:25]
	v_add_f64 v[26:27], v[36:37], v[26:27]
	v_mul_f64 v[36:37], v[100:101], s[38:39]
	v_mul_f64 v[68:69], v[102:103], s[22:23]
	s_delay_alu instid0(VALU_DEP_4) | instskip(NEXT) | instid1(VALU_DEP_4)
	v_add_f64 v[24:25], v[38:39], v[24:25]
	v_add_f64 v[38:39], v[40:41], v[26:27]
	s_delay_alu instid0(VALU_DEP_4) | instskip(SKIP_3) | instid1(VALU_DEP_4)
	v_add_f64 v[36:37], v[36:37], -v[154:155]
	v_mul_f64 v[154:155], v[98:99], s[34:35]
	v_fma_f64 v[40:41], v[76:77], s[42:43], v[156:157]
	v_add_f64 v[26:27], v[42:43], v[24:25]
	v_add_f64 v[24:25], v[36:37], v[38:39]
	v_fma_f64 v[36:37], v[72:73], s[26:27], v[68:69]
	v_fma_f64 v[38:39], v[74:75], s[30:31], -v[154:155]
	v_fma_f64 v[68:69], v[72:73], s[48:49], v[68:69]
	s_delay_alu instid0(VALU_DEP_3) | instskip(SKIP_1) | instid1(VALU_DEP_4)
	v_add_f64 v[28:29], v[36:37], v[28:29]
	v_fma_f64 v[36:37], v[74:75], s[22:23], -v[70:71]
	v_add_f64 v[38:39], v[38:39], v[52:53]
	v_mul_f64 v[52:53], v[102:103], s[24:25]
	v_fma_f64 v[70:71], v[74:75], s[22:23], v[70:71]
	v_add_f64 v[14:15], v[68:69], v[14:15]
	v_fma_f64 v[68:69], v[78:79], s[30:31], v[130:131]
	v_add_f64 v[30:31], v[36:37], v[30:31]
	;; [unrolled: 2-line block ×3, first 2 shown]
	v_fma_f64 v[70:71], v[80:81], s[42:43], v[132:133]
	s_delay_alu instid0(VALU_DEP_3) | instskip(SKIP_1) | instid1(VALU_DEP_4)
	v_add_f64 v[28:29], v[36:37], v[28:29]
	v_fma_f64 v[36:37], v[78:79], s[30:31], -v[130:131]
	v_add_f64 v[12:13], v[68:69], v[12:13]
	v_fma_f64 v[68:69], v[84:85], s[28:29], v[136:137]
	s_delay_alu instid0(VALU_DEP_3) | instskip(SKIP_1) | instid1(VALU_DEP_1)
	v_add_f64 v[30:31], v[36:37], v[30:31]
	v_fma_f64 v[36:37], v[80:81], s[40:41], v[132:133]
	v_add_f64 v[28:29], v[36:37], v[28:29]
	v_fma_f64 v[36:37], v[82:83], s[38:39], -v[134:135]
	s_delay_alu instid0(VALU_DEP_1) | instskip(SKIP_1) | instid1(VALU_DEP_1)
	v_add_f64 v[30:31], v[36:37], v[30:31]
	v_fma_f64 v[36:37], v[84:85], s[46:47], v[136:137]
	v_add_f64 v[28:29], v[36:37], v[28:29]
	v_fma_f64 v[36:37], v[86:87], s[36:37], -v[138:139]
	s_delay_alu instid0(VALU_DEP_1) | instskip(SKIP_1) | instid1(VALU_DEP_1)
	;; [unrolled: 5-line block ×5, first 2 shown]
	v_add_f64 v[28:29], v[28:29], v[36:37]
	v_fma_f64 v[36:37], v[72:73], s[34:35], v[152:153]
	v_add_f64 v[36:37], v[36:37], v[176:177]
	v_mul_f64 v[176:177], v[110:111], s[24:25]
	s_delay_alu instid0(VALU_DEP_2) | instskip(SKIP_1) | instid1(VALU_DEP_1)
	v_add_f64 v[36:37], v[40:41], v[36:37]
	v_fma_f64 v[40:41], v[78:79], s[38:39], -v[158:159]
	v_add_f64 v[38:39], v[40:41], v[38:39]
	s_delay_alu instid0(VALU_DEP_4) | instskip(NEXT) | instid1(VALU_DEP_1)
	v_fma_f64 v[40:41], v[80:81], s[56:57], v[176:177]
	v_add_f64 v[36:37], v[40:41], v[36:37]
	v_fma_f64 v[40:41], v[82:83], s[24:25], -v[178:179]
	s_delay_alu instid0(VALU_DEP_1) | instskip(SKIP_1) | instid1(VALU_DEP_1)
	v_add_f64 v[38:39], v[40:41], v[38:39]
	v_fma_f64 v[40:41], v[84:85], s[54:55], v[180:181]
	v_add_f64 v[36:37], v[40:41], v[36:37]
	v_fma_f64 v[40:41], v[86:87], s[18:19], -v[182:183]
	s_delay_alu instid0(VALU_DEP_1) | instskip(SKIP_1) | instid1(VALU_DEP_1)
	v_add_f64 v[38:39], v[40:41], v[38:39]
	;; [unrolled: 5-line block ×5, first 2 shown]
	v_fma_f64 v[40:41], v[72:73], s[40:41], v[196:197]
	v_add_f64 v[40:41], v[40:41], v[172:173]
	v_mul_f64 v[172:173], v[98:99], s[40:41]
	v_mul_f64 v[98:99], v[106:107], s[6:7]
	s_delay_alu instid0(VALU_DEP_3) | instskip(NEXT) | instid1(VALU_DEP_3)
	v_add_f64 v[40:41], v[44:45], v[40:41]
	v_fma_f64 v[42:43], v[74:75], s[38:39], -v[172:173]
	v_fma_f64 v[44:45], v[78:79], s[24:25], -v[200:201]
	s_delay_alu instid0(VALU_DEP_4) | instskip(NEXT) | instid1(VALU_DEP_3)
	v_fma_f64 v[102:103], v[76:77], s[0:1], v[98:99]
	v_add_f64 v[42:43], v[42:43], v[50:51]
	v_fma_f64 v[50:51], v[74:75], s[24:25], -v[54:55]
	v_fma_f64 v[54:55], v[74:75], s[24:25], v[54:55]
	s_delay_alu instid0(VALU_DEP_3) | instskip(SKIP_1) | instid1(VALU_DEP_4)
	v_add_f64 v[42:43], v[44:45], v[42:43]
	v_fma_f64 v[44:45], v[80:81], s[52:53], v[202:203]
	v_add_f64 v[50:51], v[50:51], v[164:165]
	s_delay_alu instid0(VALU_DEP_4) | instskip(SKIP_1) | instid1(VALU_DEP_4)
	v_add_f64 v[54:55], v[54:55], v[60:61]
	v_fma_f64 v[60:61], v[76:77], s[52:53], v[98:99]
	v_add_f64 v[40:41], v[44:45], v[40:41]
	v_fma_f64 v[44:45], v[82:83], s[6:7], -v[204:205]
	s_delay_alu instid0(VALU_DEP_1) | instskip(SKIP_1) | instid1(VALU_DEP_1)
	v_add_f64 v[42:43], v[44:45], v[42:43]
	v_fma_f64 v[44:45], v[84:85], s[8:9], v[206:207]
	v_add_f64 v[40:41], v[44:45], v[40:41]
	v_fma_f64 v[44:45], v[86:87], s[16:17], -v[208:209]
	s_delay_alu instid0(VALU_DEP_1) | instskip(SKIP_1) | instid1(VALU_DEP_1)
	;; [unrolled: 5-line block ×4, first 2 shown]
	v_add_f64 v[44:45], v[44:45], v[42:43]
	v_fma_f64 v[42:43], v[96:97], s[54:55], v[218:219]
	v_add_f64 v[42:43], v[42:43], v[40:41]
	v_fma_f64 v[40:41], v[100:101], s[18:19], -v[220:221]
	s_delay_alu instid0(VALU_DEP_1) | instskip(SKIP_2) | instid1(VALU_DEP_2)
	v_add_f64 v[40:41], v[40:41], v[44:45]
	v_fma_f64 v[44:45], v[72:73], s[46:47], v[56:57]
	v_fma_f64 v[56:57], v[72:73], s[28:29], v[56:57]
	v_add_f64 v[44:45], v[44:45], v[46:47]
	v_fma_f64 v[46:47], v[74:75], s[36:37], -v[58:59]
	s_delay_alu instid0(VALU_DEP_3) | instskip(SKIP_1) | instid1(VALU_DEP_3)
	v_add_f64 v[56:57], v[56:57], v[166:167]
	v_fma_f64 v[58:59], v[74:75], s[36:37], v[58:59]
	v_add_f64 v[46:47], v[46:47], v[48:49]
	v_fma_f64 v[48:49], v[76:77], s[54:55], v[222:223]
	s_delay_alu instid0(VALU_DEP_3) | instskip(SKIP_1) | instid1(VALU_DEP_3)
	v_add_f64 v[58:59], v[58:59], v[62:63]
	v_fma_f64 v[62:63], v[100:101], s[30:31], v[244:245]
	v_add_f64 v[44:45], v[48:49], v[44:45]
	v_fma_f64 v[48:49], v[78:79], s[18:19], -v[224:225]
	s_delay_alu instid0(VALU_DEP_1) | instskip(SKIP_1) | instid1(VALU_DEP_1)
	v_add_f64 v[46:47], v[48:49], v[46:47]
	v_fma_f64 v[48:49], v[80:81], s[8:9], v[226:227]
	v_add_f64 v[44:45], v[48:49], v[44:45]
	v_fma_f64 v[48:49], v[82:83], s[16:17], -v[228:229]
	s_delay_alu instid0(VALU_DEP_1) | instskip(SKIP_1) | instid1(VALU_DEP_1)
	;; [unrolled: 5-line block ×5, first 2 shown]
	v_add_f64 v[48:49], v[48:49], v[46:47]
	v_fma_f64 v[46:47], v[96:97], s[34:35], v[242:243]
	v_add_f64 v[46:47], v[46:47], v[44:45]
	v_fma_f64 v[44:45], v[100:101], s[30:31], -v[244:245]
	s_delay_alu instid0(VALU_DEP_1) | instskip(SKIP_2) | instid1(VALU_DEP_2)
	v_add_f64 v[44:45], v[44:45], v[48:49]
	v_fma_f64 v[48:49], v[72:73], s[56:57], v[52:53]
	v_fma_f64 v[52:53], v[72:73], s[20:21], v[52:53]
	v_add_f64 v[48:49], v[48:49], v[162:163]
	s_delay_alu instid0(VALU_DEP_2) | instskip(NEXT) | instid1(VALU_DEP_2)
	v_add_f64 v[52:53], v[52:53], v[160:161]
	v_add_f64 v[48:49], v[102:103], v[48:49]
	v_mul_f64 v[102:103], v[104:105], s[0:1]
	s_delay_alu instid0(VALU_DEP_3) | instskip(NEXT) | instid1(VALU_DEP_2)
	v_add_f64 v[52:53], v[60:61], v[52:53]
	v_fma_f64 v[104:105], v[78:79], s[6:7], -v[102:103]
	v_fma_f64 v[60:61], v[78:79], s[6:7], v[102:103]
	v_fma_f64 v[102:103], v[100:101], s[36:37], v[194:195]
	s_delay_alu instid0(VALU_DEP_3) | instskip(SKIP_3) | instid1(VALU_DEP_3)
	v_add_f64 v[50:51], v[104:105], v[50:51]
	v_mul_f64 v[104:105], v[110:111], s[36:37]
	v_mul_f64 v[111:112], v[112:113], s[48:49]
	v_add_f64 v[54:55], v[60:61], v[54:55]
	v_fma_f64 v[106:107], v[80:81], s[28:29], v[104:105]
	v_fma_f64 v[60:61], v[80:81], s[46:47], v[104:105]
	s_delay_alu instid0(VALU_DEP_2) | instskip(SKIP_1) | instid1(VALU_DEP_3)
	v_add_f64 v[48:49], v[106:107], v[48:49]
	v_mul_f64 v[106:107], v[168:169], s[28:29]
	v_add_f64 v[52:53], v[60:61], v[52:53]
	s_delay_alu instid0(VALU_DEP_2) | instskip(SKIP_1) | instid1(VALU_DEP_2)
	v_fma_f64 v[109:110], v[82:83], s[36:37], -v[106:107]
	v_fma_f64 v[60:61], v[82:83], s[36:37], v[106:107]
	v_add_f64 v[50:51], v[109:110], v[50:51]
	v_mul_f64 v[109:110], v[114:115], s[22:23]
	s_delay_alu instid0(VALU_DEP_3) | instskip(NEXT) | instid1(VALU_DEP_2)
	v_add_f64 v[54:55], v[60:61], v[54:55]
	v_fma_f64 v[114:115], v[84:85], s[48:49], v[109:110]
	v_fma_f64 v[60:61], v[84:85], s[26:27], v[109:110]
	s_delay_alu instid0(VALU_DEP_2) | instskip(SKIP_2) | instid1(VALU_DEP_4)
	v_add_f64 v[48:49], v[114:115], v[48:49]
	v_fma_f64 v[113:114], v[86:87], s[22:23], -v[111:112]
	v_mul_f64 v[115:116], v[116:117], s[10:11]
	v_add_f64 v[52:53], v[60:61], v[52:53]
	v_fma_f64 v[60:61], v[86:87], s[22:23], v[111:112]
	s_delay_alu instid0(VALU_DEP_4) | instskip(SKIP_1) | instid1(VALU_DEP_3)
	v_add_f64 v[50:51], v[113:114], v[50:51]
	v_mul_f64 v[113:114], v[118:119], s[18:19]
	v_add_f64 v[54:55], v[60:61], v[54:55]
	s_delay_alu instid0(VALU_DEP_2) | instskip(SKIP_1) | instid1(VALU_DEP_2)
	v_fma_f64 v[118:119], v[88:89], s[10:11], v[113:114]
	v_fma_f64 v[60:61], v[88:89], s[54:55], v[113:114]
	v_add_f64 v[48:49], v[118:119], v[48:49]
	v_fma_f64 v[117:118], v[90:91], s[18:19], -v[115:116]
	s_delay_alu instid0(VALU_DEP_3) | instskip(SKIP_2) | instid1(VALU_DEP_4)
	v_add_f64 v[52:53], v[60:61], v[52:53]
	v_fma_f64 v[60:61], v[90:91], s[18:19], v[115:116]
	v_mul_f64 v[119:120], v[120:121], s[40:41]
	v_add_f64 v[50:51], v[117:118], v[50:51]
	v_mul_f64 v[117:118], v[122:123], s[38:39]
	s_delay_alu instid0(VALU_DEP_4) | instskip(NEXT) | instid1(VALU_DEP_2)
	v_add_f64 v[54:55], v[60:61], v[54:55]
	v_fma_f64 v[122:123], v[92:93], s[40:41], v[117:118]
	v_fma_f64 v[60:61], v[92:93], s[42:43], v[117:118]
	s_delay_alu instid0(VALU_DEP_2) | instskip(SKIP_1) | instid1(VALU_DEP_3)
	v_add_f64 v[48:49], v[122:123], v[48:49]
	v_mul_f64 v[123:124], v[124:125], s[50:51]
	v_add_f64 v[52:53], v[60:61], v[52:53]
	v_fma_f64 v[60:61], v[94:95], s[38:39], v[119:120]
	v_fma_f64 v[121:122], v[94:95], s[38:39], -v[119:120]
	s_delay_alu instid0(VALU_DEP_4) | instskip(NEXT) | instid1(VALU_DEP_3)
	v_fma_f64 v[98:99], v[100:101], s[16:17], v[123:124]
	v_add_f64 v[60:61], v[60:61], v[54:55]
	v_fma_f64 v[54:55], v[96:97], s[8:9], v[126:127]
	s_delay_alu instid0(VALU_DEP_4) | instskip(SKIP_1) | instid1(VALU_DEP_3)
	v_add_f64 v[121:122], v[121:122], v[50:51]
	v_fma_f64 v[50:51], v[96:97], s[50:51], v[126:127]
	v_add_f64 v[54:55], v[54:55], v[52:53]
	v_add_f64 v[52:53], v[98:99], v[60:61]
	v_fma_f64 v[60:61], v[76:77], s[10:11], v[222:223]
	v_fma_f64 v[98:99], v[100:101], s[18:19], v[220:221]
	v_add_f64 v[50:51], v[50:51], v[48:49]
	v_fma_f64 v[48:49], v[100:101], s[16:17], -v[123:124]
	s_delay_alu instid0(VALU_DEP_4) | instskip(SKIP_1) | instid1(VALU_DEP_3)
	v_add_f64 v[56:57], v[60:61], v[56:57]
	v_fma_f64 v[60:61], v[78:79], s[18:19], v[224:225]
	v_add_f64 v[48:49], v[48:49], v[121:122]
	s_delay_alu instid0(VALU_DEP_2) | instskip(SKIP_1) | instid1(VALU_DEP_1)
	v_add_f64 v[58:59], v[60:61], v[58:59]
	v_fma_f64 v[60:61], v[80:81], s[50:51], v[226:227]
	v_add_f64 v[56:57], v[60:61], v[56:57]
	v_fma_f64 v[60:61], v[82:83], s[16:17], v[228:229]
	s_delay_alu instid0(VALU_DEP_1) | instskip(SKIP_1) | instid1(VALU_DEP_1)
	v_add_f64 v[58:59], v[60:61], v[58:59]
	v_fma_f64 v[60:61], v[84:85], s[42:43], v[230:231]
	v_add_f64 v[56:57], v[60:61], v[56:57]
	v_fma_f64 v[60:61], v[86:87], s[38:39], v[232:233]
	s_delay_alu instid0(VALU_DEP_1) | instskip(SKIP_1) | instid1(VALU_DEP_1)
	;; [unrolled: 5-line block ×4, first 2 shown]
	v_add_f64 v[60:61], v[60:61], v[58:59]
	v_fma_f64 v[58:59], v[96:97], s[44:45], v[242:243]
	v_add_f64 v[58:59], v[58:59], v[56:57]
	s_delay_alu instid0(VALU_DEP_3) | instskip(SKIP_2) | instid1(VALU_DEP_2)
	v_add_f64 v[56:57], v[62:63], v[60:61]
	v_fma_f64 v[60:61], v[72:73], s[42:43], v[196:197]
	v_fma_f64 v[62:63], v[74:75], s[38:39], v[172:173]
	v_add_f64 v[60:61], v[60:61], v[170:171]
	s_delay_alu instid0(VALU_DEP_2) | instskip(SKIP_1) | instid1(VALU_DEP_1)
	v_add_f64 v[62:63], v[62:63], v[64:65]
	v_fma_f64 v[64:65], v[76:77], s[20:21], v[198:199]
	v_add_f64 v[60:61], v[64:65], v[60:61]
	v_fma_f64 v[64:65], v[78:79], s[24:25], v[200:201]
	s_delay_alu instid0(VALU_DEP_1) | instskip(SKIP_1) | instid1(VALU_DEP_1)
	v_add_f64 v[62:63], v[64:65], v[62:63]
	v_fma_f64 v[64:65], v[80:81], s[0:1], v[202:203]
	v_add_f64 v[60:61], v[64:65], v[60:61]
	v_fma_f64 v[64:65], v[82:83], s[6:7], v[204:205]
	s_delay_alu instid0(VALU_DEP_1) | instskip(SKIP_1) | instid1(VALU_DEP_1)
	;; [unrolled: 5-line block ×5, first 2 shown]
	v_add_f64 v[64:65], v[64:65], v[62:63]
	v_fma_f64 v[62:63], v[96:97], s[10:11], v[218:219]
	v_add_f64 v[62:63], v[62:63], v[60:61]
	s_delay_alu instid0(VALU_DEP_3) | instskip(SKIP_3) | instid1(VALU_DEP_3)
	v_add_f64 v[60:61], v[98:99], v[64:65]
	v_fma_f64 v[64:65], v[72:73], s[44:45], v[152:153]
	v_fma_f64 v[98:99], v[74:75], s[30:31], v[154:155]
	;; [unrolled: 1-line block ×3, first 2 shown]
	v_add_f64 v[64:65], v[64:65], v[174:175]
	s_delay_alu instid0(VALU_DEP_3) | instskip(SKIP_1) | instid1(VALU_DEP_4)
	v_add_f64 v[66:67], v[98:99], v[66:67]
	v_fma_f64 v[98:99], v[76:77], s[40:41], v[156:157]
	v_add_f64 v[14:15], v[72:73], v[14:15]
	v_fma_f64 v[72:73], v[82:83], s[38:39], v[134:135]
	s_delay_alu instid0(VALU_DEP_3) | instskip(SKIP_1) | instid1(VALU_DEP_4)
	v_add_f64 v[64:65], v[98:99], v[64:65]
	v_fma_f64 v[98:99], v[78:79], s[38:39], v[158:159]
	v_add_f64 v[14:15], v[70:71], v[14:15]
	v_fma_f64 v[70:71], v[86:87], s[36:37], v[138:139]
	v_add_f64 v[12:13], v[72:73], v[12:13]
	v_fma_f64 v[72:73], v[88:89], s[20:21], v[140:141]
	v_add_f64 v[66:67], v[98:99], v[66:67]
	v_fma_f64 v[98:99], v[80:81], s[20:21], v[176:177]
	v_add_f64 v[14:15], v[68:69], v[14:15]
	v_fma_f64 v[68:69], v[90:91], s[24:25], v[142:143]
	v_add_f64 v[12:13], v[70:71], v[12:13]
	v_fma_f64 v[70:71], v[92:93], s[8:9], v[144:145]
	v_add_f64 v[64:65], v[98:99], v[64:65]
	v_fma_f64 v[98:99], v[82:83], s[24:25], v[178:179]
	v_add_f64 v[14:15], v[72:73], v[14:15]
	v_fma_f64 v[72:73], v[94:95], s[16:17], v[146:147]
	v_add_f64 v[12:13], v[68:69], v[12:13]
	v_fma_f64 v[68:69], v[96:97], s[0:1], v[148:149]
	v_add_f64 v[66:67], v[98:99], v[66:67]
	v_fma_f64 v[98:99], v[84:85], s[10:11], v[180:181]
	v_add_f64 v[14:15], v[70:71], v[14:15]
	v_fma_f64 v[70:71], v[100:101], s[6:7], v[150:151]
	v_add_f64 v[12:13], v[72:73], v[12:13]
	s_delay_alu instid0(VALU_DEP_4) | instskip(SKIP_2) | instid1(VALU_DEP_4)
	v_add_f64 v[64:65], v[98:99], v[64:65]
	v_fma_f64 v[98:99], v[86:87], s[18:19], v[182:183]
	v_add_f64 v[14:15], v[68:69], v[14:15]
	v_add_f64 v[12:13], v[70:71], v[12:13]
	v_mul_lo_u16 v68, v246, 17
	s_delay_alu instid0(VALU_DEP_1) | instskip(NEXT) | instid1(VALU_DEP_1)
	v_and_b32_e32 v68, 0xffff, v68
	v_lshlrev_b32_e32 v68, 4, v68
	v_add_f64 v[66:67], v[98:99], v[66:67]
	v_fma_f64 v[98:99], v[88:89], s[52:53], v[184:185]
	s_delay_alu instid0(VALU_DEP_1) | instskip(SKIP_1) | instid1(VALU_DEP_1)
	v_add_f64 v[64:65], v[98:99], v[64:65]
	v_fma_f64 v[98:99], v[90:91], s[6:7], v[186:187]
	v_add_f64 v[66:67], v[98:99], v[66:67]
	v_fma_f64 v[98:99], v[92:93], s[48:49], v[188:189]
	s_delay_alu instid0(VALU_DEP_1) | instskip(SKIP_1) | instid1(VALU_DEP_1)
	v_add_f64 v[64:65], v[98:99], v[64:65]
	v_fma_f64 v[98:99], v[94:95], s[22:23], v[190:191]
	v_add_f64 v[98:99], v[98:99], v[66:67]
	v_fma_f64 v[66:67], v[96:97], s[46:47], v[192:193]
	s_delay_alu instid0(VALU_DEP_1) | instskip(NEXT) | instid1(VALU_DEP_3)
	v_add_f64 v[66:67], v[66:67], v[64:65]
	v_add_f64 v[64:65], v[102:103], v[98:99]
	ds_store_b128 v68, v[4:7]
	ds_store_b128 v68, v[24:27] offset:16
	ds_store_b128 v68, v[28:31] offset:32
	;; [unrolled: 1-line block ×16, first 2 shown]
.LBB0_7:
	s_or_b32 exec_lo, exec_lo, s33
	v_add_nc_u16 v0, v246, 0x77
	v_add_nc_u16 v2, v246, 0xee
	v_and_b32_e32 v3, 0xff, v246
	v_add_co_u32 v6, null, 0x165, v246
	s_delay_alu instid0(VALU_DEP_4) | instskip(NEXT) | instid1(VALU_DEP_4)
	v_and_b32_e32 v1, 0xff, v0
	v_and_b32_e32 v4, 0xffff, v2
	s_delay_alu instid0(VALU_DEP_4) | instskip(SKIP_1) | instid1(VALU_DEP_4)
	v_mul_lo_u16 v39, 0xf1, v3
	v_add_co_u32 v7, null, 0x1dc, v246
	v_mul_lo_u16 v36, 0xf1, v1
	s_delay_alu instid0(VALU_DEP_4) | instskip(NEXT) | instid1(VALU_DEP_4)
	v_mul_u32_u24_e32 v3, 0xf0f1, v4
	v_lshrrev_b16 v38, 12, v39
	v_add_co_u32 v8, null, 0x253, v246
	s_delay_alu instid0(VALU_DEP_4) | instskip(NEXT) | instid1(VALU_DEP_4)
	v_lshrrev_b16 v13, 12, v36
	v_lshrrev_b32_e32 v5, 20, v3
	s_delay_alu instid0(VALU_DEP_4)
	v_mul_lo_u16 v4, v38, 17
	v_and_b32_e32 v17, 0xffff, v6
	v_add_co_u32 v11, null, 0x2ca, v246
	v_mul_lo_u16 v9, v13, 17
	v_mul_lo_u16 v10, v5, 17
	v_sub_nc_u16 v4, v246, v4
	v_and_b32_e32 v18, 0xffff, v7
	s_load_b128 s[4:7], s[4:5], 0x0
	v_sub_nc_u16 v12, v0, v9
	v_sub_nc_u16 v9, v2, v10
	v_and_b32_e32 v10, 0xff, v4
	s_waitcnt lgkmcnt(0)
	s_barrier
	v_and_b32_e32 v4, 0xff, v12
	v_add_co_u32 v12, null, 0x341, v246
	v_lshlrev_b32_e32 v15, 4, v10
	buffer_gl0_inv
	v_lshlrev_b32_e32 v16, 4, v4
	v_and_b32_e32 v14, 0xffff, v9
	v_mul_u32_u24_e32 v44, 0xf0f1, v17
	s_clause 0x1
	global_load_b128 v[115:118], v15, s[2:3]
	global_load_b128 v[111:114], v16, s[2:3]
	v_and_b32_e32 v15, 0xffff, v8
	v_mul_u32_u24_e32 v45, 0xf0f1, v18
	v_and_b32_e32 v16, 0xffff, v11
	v_and_b32_e32 v17, 0xffff, v12
	v_lshlrev_b32_e32 v19, 4, v14
	v_lshrrev_b32_e32 v14, 20, v44
	v_mul_u32_u24_e32 v47, 0xf0f1, v15
	v_lshrrev_b32_e32 v15, 20, v45
	v_mul_u32_u24_e32 v46, 0xf0f1, v16
	v_mul_u32_u24_e32 v37, 0xf0f1, v17
	v_mul_lo_u16 v16, v14, 17
	v_lshrrev_b32_e32 v24, 20, v47
	v_mul_lo_u16 v17, v15, 17
	v_lshrrev_b32_e32 v25, 20, v46
	v_lshrrev_b32_e32 v26, 20, v37
	v_sub_nc_u16 v27, v6, v16
	v_mul_lo_u16 v16, v24, 17
	v_sub_nc_u16 v28, v7, v17
	v_mul_lo_u16 v17, v25, 17
	v_mul_lo_u16 v18, v26, 17
	v_and_b32_e32 v20, 0xffff, v27
	v_sub_nc_u16 v29, v8, v16
	v_and_b32_e32 v16, 0xffff, v28
	v_sub_nc_u16 v30, v11, v17
	v_sub_nc_u16 v31, v12, v18
	v_lshlrev_b32_e32 v17, 4, v20
	v_and_b32_e32 v18, 0xffff, v29
	v_lshlrev_b32_e32 v16, 4, v16
	v_and_b32_e32 v20, 0xffff, v30
	v_and_b32_e32 v21, 0xffff, v31
	global_load_b128 v[135:138], v17, s[2:3]
	v_lshlrev_b32_e32 v18, 4, v18
	global_load_b128 v[131:134], v16, s[2:3]
	v_lshlrev_b32_e32 v17, 4, v20
	v_lshlrev_b32_e32 v16, 4, v21
	s_clause 0x3
	global_load_b128 v[139:142], v19, s[2:3]
	global_load_b128 v[127:130], v18, s[2:3]
	;; [unrolled: 1-line block ×4, first 2 shown]
	v_and_b32_e32 v16, 0xffff, v246
	v_lshrrev_b16 v109, 13, v39
	v_mul_lo_u16 v38, v38, 34
	v_and_b32_e32 v13, 0xffff, v13
	v_mad_u16 v29, v24, 34, v29
	v_lshlrev_b32_e32 v110, 4, v16
	ds_load_b128 v[40:43], v110 offset:15232
	ds_load_b128 v[48:51], v110 offset:17136
	;; [unrolled: 1-line block ×8, first 2 shown]
	ds_load_b128 v[20:23], v110
	ds_load_b128 v[16:19], v110 offset:1904
	v_mul_lo_u16 v39, v109, 34
	v_mad_u16 v30, v25, 34, v30
	v_mad_u16 v31, v26, 34, v31
	v_and_b32_e32 v29, 0xffff, v29
	v_cmp_gt_u16_e64 s0, 34, v246
                                        ; implicit-def: $vgpr152_vgpr153
                                        ; implicit-def: $vgpr156_vgpr157
	s_delay_alu instid0(VALU_DEP_4) | instskip(NEXT) | instid1(VALU_DEP_4)
	v_and_b32_e32 v30, 0xffff, v30
	v_and_b32_e32 v31, 0xffff, v31
	s_waitcnt vmcnt(7) lgkmcnt(9)
	v_mul_f64 v[76:77], v[42:43], v[117:118]
	v_mul_f64 v[78:79], v[40:41], v[117:118]
	s_waitcnt vmcnt(6) lgkmcnt(8)
	v_mul_f64 v[80:81], v[50:51], v[113:114]
	v_mul_f64 v[82:83], v[48:49], v[113:114]
	s_clause 0x1
	scratch_store_b128 off, v[115:118], off offset:44
	scratch_store_b128 off, v[111:114], off offset:28
	v_lshrrev_b32_e32 v117, 21, v37
	v_and_b32_e32 v118, 0xfe, v38
	v_lshrrev_b32_e32 v113, 21, v44
	v_lshrrev_b32_e32 v114, 21, v45
	s_waitcnt vmcnt(5) lgkmcnt(6)
	v_mul_f64 v[88:89], v[58:59], v[137:138]
	v_mul_f64 v[90:91], v[56:57], v[137:138]
	s_waitcnt vmcnt(4) lgkmcnt(5)
	v_mul_f64 v[92:93], v[62:63], v[133:134]
	v_mul_f64 v[94:95], v[60:61], v[133:134]
	scratch_store_b128 off, v[135:138], off offset:124 ; 16-byte Folded Spill
	s_waitcnt vmcnt(3)
	v_mul_f64 v[84:85], v[54:55], v[141:142]
	v_mul_f64 v[86:87], v[52:53], v[141:142]
	s_waitcnt vmcnt(2) lgkmcnt(4)
	v_mul_f64 v[96:97], v[66:67], v[129:130]
	v_mul_f64 v[98:99], v[64:65], v[129:130]
	s_waitcnt vmcnt(1) lgkmcnt(3)
	;; [unrolled: 3-line block ×3, first 2 shown]
	v_mul_f64 v[104:105], v[74:75], v[121:122]
	v_mul_f64 v[106:107], v[72:73], v[121:122]
	v_fma_f64 v[76:77], v[40:41], v[115:116], -v[76:77]
	v_fma_f64 v[78:79], v[42:43], v[115:116], v[78:79]
	v_fma_f64 v[80:81], v[48:49], v[111:112], -v[80:81]
	v_fma_f64 v[82:83], v[50:51], v[111:112], v[82:83]
	s_clause 0x4
	scratch_store_b128 off, v[139:142], off offset:140
	scratch_store_b128 off, v[131:134], off offset:108
	;; [unrolled: 1-line block ×5, first 2 shown]
	ds_load_b128 v[48:51], v110 offset:3808
	ds_load_b128 v[40:43], v110 offset:5712
	v_lshrrev_b16 v111, 13, v36
	v_lshrrev_b32_e32 v115, 21, v47
	v_lshrrev_b32_e32 v116, 21, v46
	v_mul_lo_u16 v122, v113, 34
	v_lshrrev_b32_e32 v112, 21, v3
	s_delay_alu instid0(VALU_DEP_1)
	v_mul_lo_u16 v121, v112, 34
	v_fma_f64 v[88:89], v[56:57], v[135:136], -v[88:89]
	v_fma_f64 v[90:91], v[58:59], v[135:136], v[90:91]
	v_fma_f64 v[92:93], v[60:61], v[131:132], -v[92:93]
	v_fma_f64 v[94:95], v[62:63], v[131:132], v[94:95]
	v_fma_f64 v[84:85], v[52:53], v[139:140], -v[84:85]
	v_fma_f64 v[86:87], v[54:55], v[139:140], v[86:87]
	v_fma_f64 v[96:97], v[64:65], v[127:128], -v[96:97]
	v_fma_f64 v[98:99], v[66:67], v[127:128], v[98:99]
	v_fma_f64 v[100:101], v[68:69], v[123:124], -v[100:101]
	v_fma_f64 v[102:103], v[70:71], v[123:124], v[102:103]
	v_fma_f64 v[104:105], v[72:73], v[119:120], -v[104:105]
	v_fma_f64 v[106:107], v[74:75], v[119:120], v[106:107]
	ds_load_b128 v[52:55], v110 offset:7616
	ds_load_b128 v[56:59], v110 offset:9520
	;; [unrolled: 1-line block ×4, first 2 shown]
	v_sub_nc_u16 v119, v246, v39
	s_waitcnt lgkmcnt(7)
	v_add_f64 v[36:37], v[20:21], -v[76:77]
	v_add_f64 v[38:39], v[22:23], -v[78:79]
	s_waitcnt lgkmcnt(6)
	v_add_f64 v[44:45], v[16:17], -v[80:81]
	v_add_f64 v[46:47], v[18:19], -v[82:83]
	v_mul_lo_u16 v120, v111, 34
	v_mul_lo_u16 v123, v114, 34
	s_waitcnt lgkmcnt(0)
	s_waitcnt_vscnt null, 0x0
	s_barrier
	buffer_gl0_inv
	v_add_f64 v[72:73], v[40:41], -v[88:89]
	v_add_f64 v[74:75], v[42:43], -v[90:91]
	;; [unrolled: 1-line block ×4, first 2 shown]
	v_mul_lo_u16 v92, v115, 34
	v_add_f64 v[68:69], v[48:49], -v[84:85]
	v_add_f64 v[70:71], v[50:51], -v[86:87]
	;; [unrolled: 1-line block ×8, first 2 shown]
	v_mul_lo_u16 v93, v116, 34
	v_mul_lo_u16 v94, v117, 34
	v_mul_u32_u24_e32 v95, 34, v13
	v_sub_nc_u16 v13, v0, v120
	v_sub_nc_u16 v102, v6, v122
	;; [unrolled: 1-line block ×4, first 2 shown]
	v_mad_u16 v92, v5, 34, v9
	v_fma_f64 v[5:6], v[20:21], 2.0, -v[36:37]
	v_fma_f64 v[7:8], v[22:23], 2.0, -v[38:39]
	v_sub_nc_u16 v105, v11, v93
	v_sub_nc_u16 v106, v12, v94
	v_add_lshl_u32 v98, v118, v10, 4
	v_mad_u16 v93, v14, 34, v27
	v_mad_u16 v94, v15, 34, v28
	v_and_b32_e32 v107, 0xff, v13
	v_fma_f64 v[9:10], v[16:17], 2.0, -v[44:45]
	v_fma_f64 v[11:12], v[18:19], 2.0, -v[46:47]
	v_sub_nc_u16 v101, v2, v121
	v_and_b32_e32 v100, 0xff, v119
	scratch_store_b32 off, v98, off offset:316 ; 4-byte Folded Spill
	v_and_b32_e32 v97, 0xffff, v101
	v_lshlrev_b32_e32 v96, 4, v100
	v_fma_f64 v[17:18], v[40:41], 2.0, -v[72:73]
	v_fma_f64 v[19:20], v[42:43], 2.0, -v[74:75]
	;; [unrolled: 1-line block ×4, first 2 shown]
	v_and_b32_e32 v52, 0xffff, v102
	v_fma_f64 v[13:14], v[48:49], 2.0, -v[68:69]
	v_fma_f64 v[15:16], v[50:51], 2.0, -v[70:71]
	;; [unrolled: 1-line block ×8, first 2 shown]
	v_add_lshl_u32 v63, v95, v4, 4
	v_and_b32_e32 v4, 0xffff, v92
	v_and_b32_e32 v57, 0xffff, v93
	;; [unrolled: 1-line block ×5, first 2 shown]
	v_lshlrev_b32_e32 v62, 4, v4
	v_lshlrev_b32_e32 v61, 4, v57
	;; [unrolled: 1-line block ×6, first 2 shown]
	v_and_b32_e32 v55, 0xffff, v105
	ds_store_b128 v98, v[5:8]
	ds_store_b128 v98, v[36:39] offset:272
	ds_store_b128 v63, v[9:12]
	scratch_store_b32 off, v63, off offset:328 ; 4-byte Folded Spill
	ds_store_b128 v63, v[44:47] offset:272
	ds_store_b128 v62, v[13:16]
	scratch_store_b32 off, v62, off offset:324 ; 4-byte Folded Spill
	;; [unrolled: 3-line block ×7, first 2 shown]
	ds_store_b128 v4, v[88:91] offset:272
	v_lshlrev_b32_e32 v4, 4, v52
	v_lshlrev_b32_e32 v5, 4, v53
	v_and_b32_e32 v56, 0xffff, v106
	v_lshlrev_b32_e32 v59, 4, v107
	v_lshlrev_b32_e32 v60, 4, v97
	;; [unrolled: 1-line block ×3, first 2 shown]
	s_waitcnt lgkmcnt(0)
	s_waitcnt_vscnt null, 0x0
	s_barrier
	buffer_gl0_inv
	s_clause 0x1
	global_load_b128 v[90:93], v4, s[2:3] offset:272
	global_load_b128 v[118:121], v5, s[2:3] offset:272
	v_lshlrev_b32_e32 v4, 4, v55
	v_lshlrev_b32_e32 v5, 4, v56
	s_clause 0x5
	global_load_b128 v[126:129], v96, s[2:3] offset:272
	global_load_b128 v[74:77], v59, s[2:3] offset:272
	;; [unrolled: 1-line block ×6, first 2 shown]
	ds_load_b128 v[4:7], v110 offset:15232
	ds_load_b128 v[8:11], v110 offset:17136
	;; [unrolled: 1-line block ×8, first 2 shown]
	s_waitcnt vmcnt(7) lgkmcnt(4)
	v_mul_f64 v[52:53], v[18:19], v[92:93]
	v_mul_f64 v[54:55], v[16:17], v[92:93]
	s_waitcnt vmcnt(6) lgkmcnt(3)
	v_mul_f64 v[56:57], v[22:23], v[120:121]
	v_mul_f64 v[58:59], v[20:21], v[120:121]
	s_waitcnt vmcnt(5)
	v_mul_f64 v[40:41], v[6:7], v[128:129]
	v_mul_f64 v[42:43], v[4:5], v[128:129]
	s_waitcnt vmcnt(4)
	v_mul_f64 v[44:45], v[10:11], v[76:77]
	v_mul_f64 v[46:47], v[8:9], v[76:77]
	s_waitcnt vmcnt(3)
	v_mul_f64 v[48:49], v[14:15], v[124:125]
	v_mul_f64 v[50:51], v[12:13], v[124:125]
	s_waitcnt vmcnt(2) lgkmcnt(2)
	v_mul_f64 v[60:61], v[26:27], v[98:99]
	v_mul_f64 v[62:63], v[24:25], v[98:99]
	s_waitcnt vmcnt(1) lgkmcnt(1)
	;; [unrolled: 3-line block ×3, first 2 shown]
	v_mul_f64 v[68:69], v[38:39], v[82:83]
	v_mul_f64 v[70:71], v[36:37], v[82:83]
	s_clause 0x5
	scratch_store_b128 off, v[126:129], off offset:252
	scratch_store_b128 off, v[74:77], off offset:228
	;; [unrolled: 1-line block ×6, first 2 shown]
	v_fma_f64 v[88:89], v[16:17], v[90:91], -v[52:53]
	v_fma_f64 v[90:91], v[18:19], v[90:91], v[54:55]
	v_fma_f64 v[92:93], v[20:21], v[118:119], -v[56:57]
	v_fma_f64 v[94:95], v[22:23], v[118:119], v[58:59]
	;; [unrolled: 2-line block ×8, first 2 shown]
	ds_load_b128 v[4:7], v110
	ds_load_b128 v[8:11], v110 offset:1904
	ds_load_b128 v[12:15], v110 offset:3808
	ds_load_b128 v[16:19], v110 offset:5712
	ds_load_b128 v[20:23], v110 offset:7616
	ds_load_b128 v[24:27], v110 offset:9520
	ds_load_b128 v[28:31], v110 offset:11424
	ds_load_b128 v[36:39], v110 offset:13328
	s_waitcnt lgkmcnt(0)
	s_waitcnt_vscnt null, 0x0
	s_barrier
	buffer_gl0_inv
	v_add_f64 v[56:57], v[16:17], -v[88:89]
	v_add_f64 v[58:59], v[18:19], -v[90:91]
	;; [unrolled: 1-line block ×16, first 2 shown]
	v_mul_lo_u16 v60, 0x44, v109
	v_and_b32_e32 v61, 0xffff, v111
	v_mad_u16 v62, 0x44, v117, v106
	s_delay_alu instid0(VALU_DEP_3) | instskip(NEXT) | instid1(VALU_DEP_3)
	v_and_b32_e32 v60, 0xfc, v60
	v_mul_u32_u24_e32 v61, 0x44, v61
	s_delay_alu instid0(VALU_DEP_2) | instskip(SKIP_1) | instid1(VALU_DEP_3)
	v_add_lshl_u32 v63, v60, v100, 4
	v_mad_u16 v60, 0x44, v116, v105
	v_add_lshl_u32 v66, v61, v107, 4
	v_and_b32_e32 v61, 0xffff, v62
                                        ; implicit-def: $vgpr116_vgpr117
	scratch_store_b32 off, v63, off offset:248 ; 4-byte Folded Spill
	v_and_b32_e32 v60, 0xffff, v60
	v_fma_f64 v[92:93], v[16:17], 2.0, -v[56:57]
	v_fma_f64 v[94:95], v[18:19], 2.0, -v[58:59]
	;; [unrolled: 1-line block ×16, first 2 shown]
	v_mad_u16 v36, 0x44, v112, v101
	v_mad_u16 v37, 0x44, v113, v102
	;; [unrolled: 1-line block ×4, first 2 shown]
                                        ; implicit-def: $vgpr112_vgpr113
	s_delay_alu instid0(VALU_DEP_4) | instskip(NEXT) | instid1(VALU_DEP_4)
	v_and_b32_e32 v36, 0xffff, v36
	v_and_b32_e32 v37, 0xffff, v37
	s_delay_alu instid0(VALU_DEP_4) | instskip(NEXT) | instid1(VALU_DEP_4)
	v_and_b32_e32 v38, 0xffff, v38
	v_and_b32_e32 v39, 0xffff, v39
	s_delay_alu instid0(VALU_DEP_4) | instskip(NEXT) | instid1(VALU_DEP_4)
	v_lshlrev_b32_e32 v65, 4, v36
	v_lshlrev_b32_e32 v64, 4, v37
	s_delay_alu instid0(VALU_DEP_4) | instskip(NEXT) | instid1(VALU_DEP_4)
	v_lshlrev_b32_e32 v62, 4, v38
	v_lshlrev_b32_e32 v38, 4, v39
	;; [unrolled: 1-line block ×4, first 2 shown]
	ds_store_b128 v63, v[4:7]
	ds_store_b128 v63, v[44:47] offset:544
	ds_store_b128 v66, v[8:11]
	scratch_store_b32 off, v66, off offset:280 ; 4-byte Folded Spill
	ds_store_b128 v66, v[48:51] offset:544
	ds_store_b128 v65, v[12:15]
	scratch_store_b32 off, v65, off offset:276 ; 4-byte Folded Spill
	ds_store_b128 v65, v[52:55] offset:544
	ds_store_b128 v64, v[92:95]
	scratch_store_b32 off, v64, off offset:272 ; 4-byte Folded Spill
	ds_store_b128 v64, v[56:59] offset:544
	ds_store_b128 v62, v[20:23]
	scratch_store_b32 off, v62, off offset:268 ; 4-byte Folded Spill
	ds_store_b128 v62, v[68:71] offset:544
	ds_store_b128 v38, v[24:27]
	scratch_store_b32 off, v38, off offset:244 ; 4-byte Folded Spill
	ds_store_b128 v38, v[76:79] offset:544
	ds_store_b128 v37, v[28:31]
	scratch_store_b32 off, v37, off offset:224 ; 4-byte Folded Spill
	ds_store_b128 v37, v[88:91] offset:544
	ds_store_b128 v36, v[16:19]
	scratch_store_b32 off, v36, off offset:220 ; 4-byte Folded Spill
	ds_store_b128 v36, v[40:43] offset:544
	s_waitcnt lgkmcnt(0)
	s_waitcnt_vscnt null, 0x0
	s_barrier
	buffer_gl0_inv
	ds_load_b128 v[140:143], v110
	ds_load_b128 v[136:139], v110 offset:1904
	ds_load_b128 v[104:107], v110 offset:4352
	;; [unrolled: 1-line block ×13, first 2 shown]
	s_and_saveexec_b32 s1, s0
	s_cbranch_execz .LBB0_9
; %bb.8:
	ds_load_b128 v[16:19], v110 offset:3808
	ds_load_b128 v[40:43], v110 offset:8160
	;; [unrolled: 1-line block ×7, first 2 shown]
.LBB0_9:
	s_or_b32 exec_lo, exec_lo, s1
	v_add_nc_u32_e32 v4, 0xffffffbc, v246
	v_cmp_gt_u16_e64 s1, 0x44, v246
	v_lshrrev_b32_e32 v3, 22, v3
	v_mul_lo_u16 v1, 0x79, v1
	s_mov_b32 s8, 0x36b3c0b5
	s_mov_b32 s24, 0xe976ee23
	v_cndmask_b32_e64 v109, v4, v246, s1
	v_mul_lo_u16 v3, 0x44, v3
	v_lshrrev_b16 v111, 13, v1
	s_mov_b32 s18, 0x429ad128
	s_mov_b32 s26, 0x37e14327
	v_mul_i32_i24_e32 v4, 0x60, v109
	v_mul_hi_i32_i24_e32 v5, 0x60, v109
	v_sub_nc_u16 v168, v2, v3
	v_mul_lo_u16 v1, 0x44, v111
	s_mov_b32 s9, 0x3fac98ee
	v_add_co_u32 v4, s1, s2, v4
	s_delay_alu instid0(VALU_DEP_1)
	v_add_co_ci_u32_e64 v5, s1, s3, v5, s1
	v_mul_lo_u16 v2, 0x60, v168
	v_sub_nc_u16 v0, v0, v1
	s_clause 0x1
	global_load_b128 v[8:11], v[4:5], off offset:816
	global_load_b128 v[12:15], v[4:5], off offset:832
	s_mov_b32 s25, 0xbfe11646
	v_and_b32_e32 v2, 0xffff, v2
	v_and_b32_e32 v169, 0xff, v0
	s_mov_b32 s19, 0x3febfeb5
	s_mov_b32 s27, 0x3fe948f6
	;; [unrolled: 1-line block ×3, first 2 shown]
	v_add_co_u32 v2, s1, s2, v2
	s_delay_alu instid0(VALU_DEP_1)
	v_add_co_ci_u32_e64 v3, null, s3, 0, s1
	s_mov_b32 s22, 0x5476071b
	s_mov_b32 s16, 0xb247c609
	;; [unrolled: 1-line block ×11, first 2 shown]
	v_cmp_lt_u16_e64 s1, 0x43, v246
	s_waitcnt vmcnt(1) lgkmcnt(11)
	v_mul_f64 v[6:7], v[106:107], v[10:11]
	scratch_store_b128 off, v[8:11], off offset:284 ; 16-byte Folded Spill
	s_waitcnt vmcnt(0)
	scratch_store_b128 off, v[12:15], off offset:332 ; 16-byte Folded Spill
	v_fma_f64 v[36:37], v[104:105], v[8:9], -v[6:7]
	v_mul_f64 v[6:7], v[104:105], v[10:11]
	s_delay_alu instid0(VALU_DEP_1) | instskip(SKIP_2) | instid1(VALU_DEP_1)
	v_fma_f64 v[38:39], v[106:107], v[8:9], v[6:7]
	s_waitcnt lgkmcnt(9)
	v_mul_f64 v[6:7], v[102:103], v[14:15]
	v_fma_f64 v[44:45], v[100:101], v[12:13], -v[6:7]
	v_mul_f64 v[6:7], v[100:101], v[14:15]
	s_delay_alu instid0(VALU_DEP_1)
	v_fma_f64 v[46:47], v[102:103], v[12:13], v[6:7]
	s_clause 0x1
	global_load_b128 v[8:11], v[4:5], off offset:896
	global_load_b128 v[12:15], v[4:5], off offset:880
	s_waitcnt vmcnt(1) lgkmcnt(1)
	v_mul_f64 v[6:7], v[98:99], v[10:11]
	scratch_store_b128 off, v[8:11], off offset:364 ; 16-byte Folded Spill
	s_waitcnt vmcnt(0)
	scratch_store_b128 off, v[12:15], off offset:396 ; 16-byte Folded Spill
	v_fma_f64 v[52:53], v[96:97], v[8:9], -v[6:7]
	v_mul_f64 v[6:7], v[96:97], v[10:11]
	s_delay_alu instid0(VALU_DEP_1) | instskip(SKIP_1) | instid1(VALU_DEP_2)
	v_fma_f64 v[54:55], v[98:99], v[8:9], v[6:7]
	v_mul_f64 v[6:7], v[70:71], v[14:15]
	v_add_f64 v[64:65], v[38:39], v[54:55]
	s_delay_alu instid0(VALU_DEP_2) | instskip(SKIP_2) | instid1(VALU_DEP_2)
	v_fma_f64 v[160:161], v[68:69], v[12:13], -v[6:7]
	v_mul_f64 v[6:7], v[68:69], v[14:15]
	v_add_f64 v[54:55], v[38:39], -v[54:55]
	v_fma_f64 v[68:69], v[70:71], v[12:13], v[6:7]
	s_clause 0x1
	global_load_b128 v[6:9], v[4:5], off offset:848
	global_load_b128 v[10:13], v[4:5], off offset:864
	v_add_f64 v[66:67], v[46:47], v[68:69]
	v_add_f64 v[46:47], v[46:47], -v[68:69]
	s_waitcnt vmcnt(1)
	v_mul_f64 v[4:5], v[50:51], v[8:9]
	scratch_store_b128 off, v[6:9], off offset:348 ; 16-byte Folded Spill
	s_waitcnt vmcnt(0)
	scratch_store_b128 off, v[10:13], off offset:380 ; 16-byte Folded Spill
	v_fma_f64 v[162:163], v[48:49], v[6:7], -v[4:5]
	v_mul_f64 v[4:5], v[48:49], v[8:9]
	s_delay_alu instid0(VALU_DEP_1) | instskip(SKIP_4) | instid1(VALU_DEP_1)
	v_fma_f64 v[70:71], v[50:51], v[6:7], v[4:5]
	s_clause 0x1
	global_load_b128 v[104:107], v[2:3], off offset:816
	global_load_b128 v[6:9], v[2:3], off offset:832
	v_mul_f64 v[4:5], v[22:23], v[12:13]
	v_fma_f64 v[166:167], v[20:21], v[10:11], -v[4:5]
	v_mul_f64 v[4:5], v[20:21], v[12:13]
	s_delay_alu instid0(VALU_DEP_1) | instskip(NEXT) | instid1(VALU_DEP_1)
	v_fma_f64 v[164:165], v[22:23], v[10:11], v[4:5]
	v_add_f64 v[72:73], v[70:71], v[164:165]
	v_add_f64 v[68:69], v[164:165], -v[70:71]
	v_add_f64 v[164:165], v[46:47], -v[54:55]
	s_waitcnt vmcnt(1)
	v_mul_f64 v[4:5], v[42:43], v[106:107]
	s_waitcnt vmcnt(0)
	scratch_store_b128 off, v[6:9], off offset:568 ; 16-byte Folded Spill
	v_fma_f64 v[12:13], v[40:41], v[104:105], -v[4:5]
	v_mul_f64 v[4:5], v[40:41], v[106:107]
	s_delay_alu instid0(VALU_DEP_1) | instskip(SKIP_1) | instid1(VALU_DEP_1)
	v_fma_f64 v[14:15], v[42:43], v[104:105], v[4:5]
	v_mul_f64 v[4:5], v[34:35], v[8:9]
	v_fma_f64 v[28:29], v[32:33], v[6:7], -v[4:5]
	v_mul_f64 v[4:5], v[32:33], v[8:9]
	s_delay_alu instid0(VALU_DEP_1)
	v_fma_f64 v[30:31], v[34:35], v[6:7], v[4:5]
	s_clause 0x1
	global_load_b128 v[6:9], v[2:3], off offset:896
	global_load_b128 v[20:23], v[2:3], off offset:880
	s_waitcnt vmcnt(1) lgkmcnt(0)
	v_mul_f64 v[4:5], v[158:159], v[8:9]
	scratch_store_b128 off, v[6:9], off offset:584 ; 16-byte Folded Spill
	s_waitcnt vmcnt(0)
	scratch_store_b128 off, v[20:23], off offset:600 ; 16-byte Folded Spill
	v_fma_f64 v[32:33], v[156:157], v[6:7], -v[4:5]
	v_mul_f64 v[4:5], v[156:157], v[8:9]
	s_delay_alu instid0(VALU_DEP_1) | instskip(SKIP_1) | instid1(VALU_DEP_2)
	v_fma_f64 v[34:35], v[158:159], v[6:7], v[4:5]
	v_mul_f64 v[4:5], v[154:155], v[22:23]
	v_add_f64 v[174:175], v[14:15], v[34:35]
	s_delay_alu instid0(VALU_DEP_2) | instskip(SKIP_2) | instid1(VALU_DEP_2)
	v_fma_f64 v[40:41], v[152:153], v[20:21], -v[4:5]
	v_mul_f64 v[4:5], v[152:153], v[22:23]
	v_add_f64 v[14:15], v[14:15], -v[34:35]
	v_fma_f64 v[42:43], v[154:155], v[20:21], v[4:5]
	s_clause 0x1
	global_load_b128 v[4:7], v[2:3], off offset:848
	global_load_b128 v[8:11], v[2:3], off offset:864
	v_mad_u64_u32 v[20:21], null, 0x60, v169, s[2:3]
	v_add_f64 v[176:177], v[30:31], v[42:43]
	v_add_f64 v[30:31], v[30:31], -v[42:43]
	s_waitcnt vmcnt(1)
	v_mul_f64 v[2:3], v[114:115], v[6:7]
	scratch_store_b128 off, v[4:7], off offset:616 ; 16-byte Folded Spill
	s_waitcnt vmcnt(0)
	scratch_store_b128 off, v[8:11], off offset:632 ; 16-byte Folded Spill
	v_fma_f64 v[154:155], v[112:113], v[4:5], -v[2:3]
	v_mul_f64 v[2:3], v[112:113], v[6:7]
	s_delay_alu instid0(VALU_DEP_1) | instskip(SKIP_1) | instid1(VALU_DEP_1)
	v_fma_f64 v[152:153], v[114:115], v[4:5], v[2:3]
	v_mul_f64 v[2:3], v[118:119], v[10:11]
	v_fma_f64 v[158:159], v[116:117], v[8:9], -v[2:3]
	v_mul_f64 v[2:3], v[116:117], v[10:11]
	s_delay_alu instid0(VALU_DEP_2) | instskip(NEXT) | instid1(VALU_DEP_2)
	v_add_f64 v[170:171], v[154:155], v[158:159]
	v_fma_f64 v[156:157], v[118:119], v[8:9], v[2:3]
	s_clause 0x1
	global_load_b128 v[4:7], v[20:21], off offset:816
	global_load_b128 v[8:11], v[20:21], off offset:832
	v_add_f64 v[178:179], v[152:153], v[156:157]
	s_waitcnt vmcnt(1)
	scratch_store_b128 off, v[4:7], off offset:412 ; 16-byte Folded Spill
	s_waitcnt vmcnt(0)
	scratch_store_b128 off, v[8:11], off offset:428 ; 16-byte Folded Spill
	s_clause 0x1
	global_load_b128 v[22:25], v[20:21], off offset:896
	global_load_b128 v[48:51], v[20:21], off offset:880
	v_mul_f64 v[0:1], v[130:131], v[6:7]
	s_delay_alu instid0(VALU_DEP_1) | instskip(SKIP_1) | instid1(VALU_DEP_1)
	v_fma_f64 v[2:3], v[128:129], v[4:5], -v[0:1]
	v_mul_f64 v[0:1], v[128:129], v[6:7]
	v_fma_f64 v[0:1], v[130:131], v[4:5], v[0:1]
	v_mul_f64 v[4:5], v[126:127], v[10:11]
	s_delay_alu instid0(VALU_DEP_1) | instskip(SKIP_1) | instid1(VALU_DEP_1)
	v_fma_f64 v[6:7], v[124:125], v[8:9], -v[4:5]
	v_mul_f64 v[4:5], v[124:125], v[10:11]
	v_fma_f64 v[4:5], v[126:127], v[8:9], v[4:5]
	s_waitcnt vmcnt(1)
	scratch_store_b128 off, v[22:25], off offset:460 ; 16-byte Folded Spill
	s_waitcnt vmcnt(0)
	scratch_store_b128 off, v[48:51], off offset:476 ; 16-byte Folded Spill
	s_clause 0x1
	global_load_b128 v[56:59], v[20:21], off offset:848
	global_load_b128 v[60:63], v[20:21], off offset:864
	v_mul_f64 v[8:9], v[134:135], v[24:25]
	s_delay_alu instid0(VALU_DEP_1) | instskip(SKIP_1) | instid1(VALU_DEP_2)
	v_fma_f64 v[10:11], v[132:133], v[22:23], -v[8:9]
	v_mul_f64 v[8:9], v[132:133], v[24:25]
	v_add_f64 v[182:183], v[2:3], v[10:11]
	s_delay_alu instid0(VALU_DEP_2) | instskip(SKIP_2) | instid1(VALU_DEP_3)
	v_fma_f64 v[8:9], v[134:135], v[22:23], v[8:9]
	v_mul_f64 v[22:23], v[122:123], v[50:51]
	v_add_f64 v[10:11], v[2:3], -v[10:11]
	v_add_f64 v[190:191], v[0:1], v[8:9]
	s_delay_alu instid0(VALU_DEP_3) | instskip(SKIP_2) | instid1(VALU_DEP_3)
	v_fma_f64 v[26:27], v[120:121], v[48:49], -v[22:23]
	v_mul_f64 v[22:23], v[120:121], v[50:51]
	v_add_f64 v[8:9], v[0:1], -v[8:9]
	v_add_f64 v[184:185], v[6:7], v[26:27]
	s_delay_alu instid0(VALU_DEP_3) | instskip(SKIP_1) | instid1(VALU_DEP_3)
	v_fma_f64 v[24:25], v[122:123], v[48:49], v[22:23]
	v_add_f64 v[6:7], v[6:7], -v[26:27]
	v_add_f64 v[26:27], v[184:185], -v[182:183]
	s_delay_alu instid0(VALU_DEP_3) | instskip(SKIP_1) | instid1(VALU_DEP_4)
	v_add_f64 v[192:193], v[4:5], v[24:25]
	v_add_f64 v[2:3], v[4:5], -v[24:25]
	v_add_f64 v[24:25], v[6:7], -v[10:11]
	s_waitcnt vmcnt(1)
	v_mul_f64 v[20:21], v[150:151], v[58:59]
	scratch_store_b128 off, v[56:59], off offset:444 ; 16-byte Folded Spill
	s_waitcnt vmcnt(0)
	scratch_store_b128 off, v[60:63], off offset:492 ; 16-byte Folded Spill
	v_fma_f64 v[50:51], v[148:149], v[56:57], -v[20:21]
	v_mul_f64 v[20:21], v[148:149], v[58:59]
	v_add_f64 v[148:149], v[12:13], v[32:33]
	v_add_f64 v[12:13], v[12:13], -v[32:33]
	v_add_f64 v[32:33], v[156:157], -v[152:153]
	s_delay_alu instid0(VALU_DEP_4) | instskip(SKIP_4) | instid1(VALU_DEP_4)
	v_fma_f64 v[48:49], v[150:151], v[56:57], v[20:21]
	v_mul_f64 v[20:21], v[146:147], v[62:63]
	v_add_f64 v[150:151], v[28:29], v[40:41]
	v_add_f64 v[28:29], v[28:29], -v[40:41]
	v_add_f64 v[40:41], v[158:159], -v[154:155]
	v_fma_f64 v[58:59], v[144:145], v[60:61], -v[20:21]
	v_mul_f64 v[20:21], v[144:145], v[62:63]
	v_add_f64 v[144:145], v[36:37], v[52:53]
	v_add_f64 v[52:53], v[36:37], -v[52:53]
	v_add_f64 v[42:43], v[170:171], -v[150:151]
	;; [unrolled: 1-line block ×3, first 2 shown]
	v_add_f64 v[186:187], v[50:51], v[58:59]
	v_fma_f64 v[56:57], v[146:147], v[60:61], v[20:21]
	v_add_f64 v[146:147], v[44:45], v[160:161]
	v_add_f64 v[60:61], v[162:163], v[166:167]
	v_add_f64 v[44:45], v[44:45], -v[160:161]
	s_delay_alu instid0(VALU_DEP_4) | instskip(NEXT) | instid1(VALU_DEP_4)
	v_add_f64 v[194:195], v[48:49], v[56:57]
	v_add_f64 v[20:21], v[146:147], v[144:145]
	v_add_f64 v[70:71], v[146:147], -v[144:145]
	s_delay_alu instid0(VALU_DEP_4) | instskip(NEXT) | instid1(VALU_DEP_3)
	v_add_f64 v[160:161], v[44:45], -v[52:53]
	v_add_f64 v[62:63], v[60:61], v[20:21]
	v_add_f64 v[20:21], v[66:67], v[64:65]
	s_delay_alu instid0(VALU_DEP_2) | instskip(NEXT) | instid1(VALU_DEP_2)
	v_add_f64 v[140:141], v[140:141], v[62:63]
	v_add_f64 v[74:75], v[72:73], v[20:21]
	;; [unrolled: 1-line block ×3, first 2 shown]
	v_mul_f64 v[150:151], v[42:43], s[8:9]
	v_add_f64 v[148:149], v[148:149], -v[170:171]
	v_fma_f64 v[62:63], v[62:63], s[20:21], v[140:141]
	v_add_f64 v[142:143], v[142:143], v[74:75]
	v_add_f64 v[172:173], v[170:171], v[20:21]
	;; [unrolled: 1-line block ×3, first 2 shown]
	v_fma_f64 v[150:151], v[34:35], s[22:23], -v[150:151]
	v_mul_f64 v[148:149], v[148:149], s[26:27]
	v_fma_f64 v[74:75], v[74:75], s[20:21], v[142:143]
	v_add_f64 v[16:17], v[16:17], v[172:173]
	v_add_f64 v[180:181], v[178:179], v[20:21]
	;; [unrolled: 1-line block ×3, first 2 shown]
	s_delay_alu instid0(VALU_DEP_3) | instskip(NEXT) | instid1(VALU_DEP_3)
	v_fma_f64 v[154:155], v[172:173], s[20:21], v[16:17]
	v_add_f64 v[18:19], v[18:19], v[180:181]
	s_delay_alu instid0(VALU_DEP_3) | instskip(SKIP_1) | instid1(VALU_DEP_4)
	v_add_f64 v[188:189], v[186:187], v[20:21]
	v_add_f64 v[20:21], v[192:193], v[190:191]
	;; [unrolled: 1-line block ×3, first 2 shown]
	s_delay_alu instid0(VALU_DEP_4) | instskip(NEXT) | instid1(VALU_DEP_3)
	v_fma_f64 v[156:157], v[180:181], s[20:21], v[18:19]
	v_add_f64 v[196:197], v[194:195], v[20:21]
	v_add_f64 v[20:21], v[136:137], v[188:189]
	v_add_f64 v[136:137], v[166:167], -v[162:163]
	v_add_f64 v[162:163], v[68:69], v[46:47]
	s_delay_alu instid0(VALU_DEP_4)
	v_add_f64 v[22:23], v[138:139], v[196:197]
	v_add_f64 v[138:139], v[60:61], -v[146:147]
	v_add_f64 v[146:147], v[66:67], -v[64:65]
	v_add_f64 v[36:37], v[136:137], v[44:45]
	v_add_f64 v[38:39], v[136:137], -v[44:45]
	v_add_f64 v[44:45], v[68:69], -v[46:47]
	;; [unrolled: 1-line block ×5, first 2 shown]
	v_add_f64 v[162:163], v[162:163], v[54:55]
	v_add_f64 v[72:73], v[52:53], -v[136:137]
	v_add_f64 v[136:137], v[54:55], -v[68:69]
	v_mul_f64 v[54:55], v[164:165], s[18:19]
	v_add_f64 v[200:201], v[36:37], v[52:53]
	v_mul_f64 v[166:167], v[38:39], s[24:25]
	v_mul_f64 v[198:199], v[44:45], s[24:25]
	;; [unrolled: 1-line block ×7, first 2 shown]
	v_fma_f64 v[54:55], v[136:137], s[30:31], -v[54:55]
	v_fma_f64 v[44:45], v[160:161], s[18:19], -v[166:167]
	v_fma_f64 v[136:137], v[136:137], s[16:17], v[198:199]
	v_fma_f64 v[36:37], v[70:71], s[22:23], -v[36:37]
	v_fma_f64 v[52:53], v[72:73], s[30:31], -v[52:53]
	v_fma_f64 v[68:69], v[70:71], s[28:29], -v[60:61]
	v_fma_f64 v[70:71], v[146:147], s[28:29], -v[64:65]
	v_fma_f64 v[72:73], v[72:73], s[16:17], v[166:167]
	v_fma_f64 v[60:61], v[138:139], s[8:9], v[60:61]
	;; [unrolled: 1-line block ×3, first 2 shown]
	v_fma_f64 v[38:39], v[146:147], s[22:23], -v[38:39]
	v_fma_f64 v[146:147], v[162:163], s[10:11], v[54:55]
	v_fma_f64 v[46:47], v[200:201], s[10:11], v[44:45]
	v_fma_f64 v[44:45], v[164:165], s[18:19], -v[198:199]
	v_add_f64 v[202:203], v[36:37], v[62:63]
	v_fma_f64 v[144:145], v[200:201], s[10:11], v[52:53]
	v_add_f64 v[68:69], v[68:69], v[62:63]
	v_add_f64 v[70:71], v[70:71], v[74:75]
	v_fma_f64 v[66:67], v[200:201], s[10:11], v[72:73]
	v_fma_f64 v[72:73], v[162:163], s[10:11], v[136:137]
	v_add_f64 v[60:61], v[60:61], v[62:63]
	v_add_f64 v[204:205], v[38:39], v[74:75]
	;; [unrolled: 1-line block ×5, first 2 shown]
	v_fma_f64 v[44:45], v[162:163], s[10:11], v[44:45]
	v_add_f64 v[52:53], v[146:147], v[68:69]
	v_add_f64 v[54:55], v[70:71], -v[144:145]
	v_add_f64 v[70:71], v[144:145], v[70:71]
	v_add_f64 v[68:69], v[68:69], -v[146:147]
	;; [unrolled: 2-line block ×3, first 2 shown]
	v_add_f64 v[72:73], v[32:33], -v[30:31]
	v_add_f64 v[30:31], v[30:31], -v[14:15]
	v_add_f64 v[74:75], v[74:75], v[14:15]
	v_add_f64 v[138:139], v[62:63], -v[66:67]
	v_add_f64 v[146:147], v[66:67], v[62:63]
	v_add_f64 v[66:67], v[40:41], -v[28:29]
	v_add_f64 v[28:29], v[28:29], -v[12:13]
	v_add_f64 v[60:61], v[176:177], -v[174:175]
	v_add_f64 v[64:65], v[64:65], v[12:13]
	v_add_f64 v[40:41], v[12:13], -v[40:41]
	v_add_f64 v[32:33], v[14:15], -v[32:33]
	;; [unrolled: 4-line block ×3, first 2 shown]
	v_add_f64 v[44:45], v[44:45], v[202:203]
	v_mul_f64 v[72:73], v[72:73], s[24:25]
	v_mul_f64 v[14:15], v[30:31], s[18:19]
	;; [unrolled: 1-line block ×5, first 2 shown]
	v_fma_f64 v[160:161], v[30:31], s[18:19], -v[72:73]
	v_fma_f64 v[14:15], v[32:33], s[30:31], -v[14:15]
	;; [unrolled: 1-line block ×5, first 2 shown]
	v_add_f64 v[34:35], v[2:3], -v[8:9]
	v_fma_f64 v[152:153], v[60:61], s[22:23], -v[152:153]
	v_fma_f64 v[160:161], v[74:75], s[10:11], v[160:161]
	v_fma_f64 v[14:15], v[74:75], s[10:11], v[14:15]
	;; [unrolled: 1-line block ×4, first 2 shown]
	v_add_f64 v[28:29], v[28:29], v[154:155]
	v_add_f64 v[152:153], v[152:153], v[156:157]
	v_add_f64 v[76:77], v[150:151], -v[160:161]
	v_add_f64 v[198:199], v[160:161], v[150:151]
	v_add_f64 v[150:151], v[174:175], -v[178:179]
	;; [unrolled: 2-line block ×3, first 2 shown]
	v_add_f64 v[14:15], v[56:57], -v[48:49]
	v_add_f64 v[28:29], v[186:187], -v[184:185]
	;; [unrolled: 1-line block ×3, first 2 shown]
	v_add_f64 v[78:79], v[158:159], v[152:153]
	v_add_f64 v[200:201], v[152:153], -v[158:159]
	v_fma_f64 v[152:153], v[188:189], s[20:21], v[20:21]
	v_fma_f64 v[158:159], v[196:197], s[20:21], v[22:23]
	v_mul_f64 v[150:151], v[150:151], s[26:27]
	v_add_f64 v[166:167], v[8:9], -v[14:15]
	scratch_store_b128 off, v[76:79], off offset:12 ; 16-byte Folded Spill
	s_waitcnt_vscnt null, 0x0
	s_barrier
	buffer_gl0_inv
	v_fma_f64 v[30:31], v[60:61], s[28:29], -v[150:151]
	s_delay_alu instid0(VALU_DEP_1) | instskip(NEXT) | instid1(VALU_DEP_1)
	v_add_f64 v[30:31], v[30:31], v[156:157]
	v_add_f64 v[206:207], v[30:31], -v[12:13]
	v_add_f64 v[172:173], v[12:13], v[30:31]
	v_add_f64 v[12:13], v[58:59], -v[50:51]
	v_add_f64 v[50:51], v[194:195], -v[192:193]
	v_add_f64 v[30:31], v[14:15], v[2:3]
	s_delay_alu instid0(VALU_DEP_3)
	v_add_f64 v[0:1], v[12:13], -v[6:7]
	v_add_f64 v[4:5], v[12:13], v[6:7]
	v_add_f64 v[6:7], v[14:15], -v[2:3]
	v_mul_f64 v[2:3], v[50:51], s[8:9]
	v_add_f64 v[30:31], v[30:31], v[8:9]
	v_add_f64 v[164:165], v[10:11], -v[12:13]
	v_mul_f64 v[8:9], v[24:25], s[18:19]
	v_mul_f64 v[56:57], v[0:1], s[24:25]
	v_add_f64 v[60:61], v[4:5], v[10:11]
	v_mul_f64 v[58:59], v[6:7], s[24:25]
	v_mul_f64 v[0:1], v[28:29], s[8:9]
	v_fma_f64 v[2:3], v[48:49], s[22:23], -v[2:3]
	v_mul_f64 v[10:11], v[34:35], s[18:19]
	v_fma_f64 v[8:9], v[164:165], s[30:31], -v[8:9]
	v_fma_f64 v[4:5], v[24:25], s[18:19], -v[56:57]
	;; [unrolled: 1-line block ×3, first 2 shown]
	v_add_f64 v[162:163], v[2:3], v[158:159]
	v_fma_f64 v[10:11], v[166:167], s[30:31], -v[10:11]
	s_delay_alu instid0(VALU_DEP_4) | instskip(SKIP_2) | instid1(VALU_DEP_3)
	v_fma_f64 v[6:7], v[60:61], s[10:11], v[4:5]
	v_fma_f64 v[4:5], v[34:35], s[18:19], -v[58:59]
	v_add_f64 v[160:161], v[0:1], v[152:153]
	v_add_f64 v[2:3], v[6:7], v[162:163]
	s_delay_alu instid0(VALU_DEP_3) | instskip(SKIP_2) | instid1(VALU_DEP_3)
	v_fma_f64 v[4:5], v[30:31], s[10:11], v[4:5]
	v_add_f64 v[6:7], v[162:163], -v[6:7]
	v_add_f64 v[162:163], v[190:191], -v[194:195]
	;; [unrolled: 1-line block ×3, first 2 shown]
	v_add_f64 v[4:5], v[4:5], v[160:161]
	v_add_f64 v[160:161], v[182:183], -v[186:187]
	s_delay_alu instid0(VALU_DEP_4) | instskip(NEXT) | instid1(VALU_DEP_2)
	v_mul_f64 v[34:35], v[162:163], s[26:27]
	v_mul_f64 v[24:25], v[160:161], s[26:27]
	s_delay_alu instid0(VALU_DEP_2) | instskip(SKIP_1) | instid1(VALU_DEP_3)
	v_fma_f64 v[14:15], v[48:49], s[28:29], -v[34:35]
	v_fma_f64 v[48:49], v[30:31], s[10:11], v[10:11]
	v_fma_f64 v[12:13], v[26:27], s[28:29], -v[24:25]
	v_fma_f64 v[26:27], v[60:61], s[10:11], v[8:9]
	s_delay_alu instid0(VALU_DEP_4) | instskip(SKIP_3) | instid1(VALU_DEP_4)
	v_add_f64 v[14:15], v[14:15], v[158:159]
	v_fma_f64 v[24:25], v[28:29], s[8:9], v[24:25]
	v_fma_f64 v[28:29], v[50:51], s[8:9], v[34:35]
	v_add_f64 v[12:13], v[12:13], v[152:153]
	v_add_f64 v[10:11], v[14:15], -v[26:27]
	v_add_f64 v[14:15], v[26:27], v[14:15]
	v_fma_f64 v[26:27], v[164:165], s[16:17], v[56:57]
	v_add_f64 v[50:51], v[28:29], v[158:159]
	v_add_f64 v[8:9], v[48:49], v[12:13]
	v_add_f64 v[12:13], v[12:13], -v[48:49]
	v_fma_f64 v[48:49], v[166:167], s[16:17], v[58:59]
	v_fma_f64 v[34:35], v[60:61], s[10:11], v[26:27]
	s_delay_alu instid0(VALU_DEP_2) | instskip(SKIP_1) | instid1(VALU_DEP_3)
	v_fma_f64 v[30:31], v[30:31], s[10:11], v[48:49]
	v_add_f64 v[48:49], v[24:25], v[152:153]
	v_add_f64 v[26:27], v[50:51], -v[34:35]
	s_delay_alu instid0(VALU_DEP_2) | instskip(SKIP_3) | instid1(VALU_DEP_1)
	v_add_f64 v[24:25], v[30:31], v[48:49]
	v_add_f64 v[28:29], v[48:49], -v[30:31]
	v_add_f64 v[30:31], v[34:35], v[50:51]
	v_cndmask_b32_e64 v34, 0, 0x1dc, s1
	v_add_lshl_u32 v113, v109, v34, 4
	v_and_b32_e32 v34, 0xffff, v111
	ds_store_b128 v113, v[140:143]
	ds_store_b128 v113, v[136:139] offset:1088
	ds_store_b128 v113, v[52:55] offset:2176
	;; [unrolled: 1-line block ×6, first 2 shown]
	v_mul_u32_u24_e32 v34, 0x1dc, v34
	v_and_b32_e32 v111, 0xffff, v168
	s_delay_alu instid0(VALU_DEP_2)
	v_add_lshl_u32 v112, v34, v169, 4
	ds_store_b128 v112, v[20:23]
	ds_store_b128 v112, v[24:27] offset:1088
	ds_store_b128 v112, v[8:11] offset:2176
	;; [unrolled: 1-line block ×6, first 2 shown]
	v_fma_f64 v[0:1], v[32:33], s[16:17], v[72:73]
	v_fma_f64 v[2:3], v[40:41], s[16:17], v[66:67]
	v_fma_f64 v[6:7], v[42:43], s[8:9], v[148:149]
	v_fma_f64 v[8:9], v[62:63], s[8:9], v[150:151]
	s_delay_alu instid0(VALU_DEP_4) | instskip(NEXT) | instid1(VALU_DEP_4)
	v_fma_f64 v[0:1], v[74:75], s[10:11], v[0:1]
	v_fma_f64 v[4:5], v[64:65], s[10:11], v[2:3]
	s_delay_alu instid0(VALU_DEP_4) | instskip(NEXT) | instid1(VALU_DEP_4)
	v_add_f64 v[2:3], v[6:7], v[154:155]
	v_add_f64 v[6:7], v[8:9], v[156:157]
	s_delay_alu instid0(VALU_DEP_2) | instskip(NEXT) | instid1(VALU_DEP_2)
	v_add_f64 v[174:175], v[2:3], -v[0:1]
	v_add_f64 v[176:177], v[4:5], v[6:7]
	s_and_saveexec_b32 s1, s0
	s_cbranch_execz .LBB0_11
; %bb.10:
	v_add_f64 v[4:5], v[6:7], -v[4:5]
	scratch_load_b128 v[6:9], off, off offset:12 ; 16-byte Folded Reload
	v_add_f64 v[2:3], v[0:1], v[2:3]
	v_lshlrev_b32_e32 v0, 4, v111
	ds_store_b128 v0, v[204:207] offset:25024
	s_waitcnt vmcnt(0)
	ds_store_b128 v0, v[6:9] offset:26112
	ds_store_b128 v0, v[198:201] offset:27200
	;; [unrolled: 1-line block ×6, first 2 shown]
.LBB0_11:
	s_or_b32 exec_lo, exec_lo, s1
	v_mad_u64_u32 v[24:25], null, v246, 48, s[2:3]
	scratch_store_b32 off, v246, off offset:8 ; 4-byte Folded Spill
	s_waitcnt lgkmcnt(0)
	s_waitcnt_vscnt null, 0x0
	s_barrier
	buffer_gl0_inv
	v_add_co_u32 v0, s1, 0x1000, v24
	s_delay_alu instid0(VALU_DEP_1) | instskip(SKIP_2) | instid1(VALU_DEP_1)
	v_add_co_ci_u32_e64 v1, s1, 0, v25, s1
	global_load_b128 v[140:143], v[0:1], off offset:3248
	v_add_co_u32 v0, s1, 0x1cb0, v24
	v_add_co_ci_u32_e64 v1, s1, 0, v25, s1
	s_clause 0x1
	global_load_b128 v[148:151], v[0:1], off offset:16
	global_load_b128 v[144:147], v[0:1], off offset:32
	v_add_co_u32 v0, s1, 0x3000, v24
	s_delay_alu instid0(VALU_DEP_1) | instskip(SKIP_2) | instid1(VALU_DEP_1)
	v_add_co_ci_u32_e64 v1, s1, 0, v25, s1
	global_load_b128 v[156:159], v[0:1], off offset:768
	v_add_co_u32 v0, s1, 0x3300, v24
	v_add_co_ci_u32_e64 v1, s1, 0, v25, s1
	s_clause 0x1
	global_load_b128 v[178:181], v[0:1], off offset:16
	global_load_b128 v[182:185], v[0:1], off offset:32
	v_add_co_u32 v0, s1, 0x4000, v24
	s_delay_alu instid0(VALU_DEP_1) | instskip(SKIP_1) | instid1(VALU_DEP_1)
	v_add_co_ci_u32_e64 v1, s1, 0, v25, s1
	v_add_co_u32 v42, s1, 0x5fa0, v24
	v_add_co_ci_u32_e64 v43, s1, 0, v25, s1
	global_load_b128 v[186:189], v[0:1], off offset:2384
	ds_load_b128 v[0:3], v110 offset:7616
	ds_load_b128 v[4:7], v110 offset:15232
	ds_load_b128 v[8:11], v110 offset:22848
	ds_load_b128 v[12:15], v110 offset:9520
	ds_load_b128 v[16:19], v110 offset:17136
	ds_load_b128 v[20:23], v110 offset:24752
	global_load_b128 v[190:193], v[42:43], off offset:16
	s_waitcnt vmcnt(7) lgkmcnt(5)
	v_mul_f64 v[26:27], v[2:3], v[142:143]
	v_mul_f64 v[28:29], v[0:1], v[142:143]
	s_waitcnt vmcnt(6) lgkmcnt(4)
	v_mul_f64 v[30:31], v[6:7], v[150:151]
	v_mul_f64 v[32:33], v[4:5], v[150:151]
	;; [unrolled: 3-line block ×3, first 2 shown]
	v_fma_f64 v[26:27], v[0:1], v[140:141], -v[26:27]
	v_fma_f64 v[28:29], v[2:3], v[140:141], v[28:29]
	s_waitcnt vmcnt(4) lgkmcnt(2)
	v_mul_f64 v[0:1], v[14:15], v[158:159]
	v_mul_f64 v[2:3], v[12:13], v[158:159]
	v_fma_f64 v[30:31], v[4:5], v[148:149], -v[30:31]
	v_fma_f64 v[32:33], v[6:7], v[148:149], v[32:33]
	s_waitcnt vmcnt(3) lgkmcnt(1)
	v_mul_f64 v[4:5], v[18:19], v[180:181]
	v_mul_f64 v[6:7], v[16:17], v[180:181]
	v_fma_f64 v[34:35], v[8:9], v[144:145], -v[34:35]
	s_waitcnt vmcnt(2) lgkmcnt(0)
	v_mul_f64 v[8:9], v[22:23], v[184:185]
	v_fma_f64 v[36:37], v[10:11], v[144:145], v[36:37]
	v_mul_f64 v[10:11], v[20:21], v[184:185]
	v_fma_f64 v[38:39], v[12:13], v[156:157], -v[0:1]
	v_fma_f64 v[40:41], v[14:15], v[156:157], v[2:3]
	ds_load_b128 v[0:3], v110 offset:11424
	v_fma_f64 v[16:17], v[16:17], v[178:179], -v[4:5]
	v_fma_f64 v[18:19], v[18:19], v[178:179], v[6:7]
	ds_load_b128 v[4:7], v110 offset:13328
	v_fma_f64 v[20:21], v[20:21], v[182:183], -v[8:9]
	v_fma_f64 v[22:23], v[22:23], v[182:183], v[10:11]
	s_waitcnt vmcnt(1) lgkmcnt(1)
	v_mul_f64 v[8:9], v[2:3], v[188:189]
	s_delay_alu instid0(VALU_DEP_1) | instskip(SKIP_1) | instid1(VALU_DEP_1)
	v_fma_f64 v[44:45], v[0:1], v[186:187], -v[8:9]
	v_mul_f64 v[0:1], v[0:1], v[188:189]
	v_fma_f64 v[46:47], v[2:3], v[186:187], v[0:1]
	v_add_co_u32 v0, s1, 0x4950, v24
	s_delay_alu instid0(VALU_DEP_1)
	v_add_co_ci_u32_e64 v1, s1, 0, v25, s1
	s_clause 0x1
	global_load_b128 v[50:53], v[0:1], off offset:16
	global_load_b128 v[194:197], v[0:1], off offset:32
	ds_load_b128 v[0:3], v110 offset:19040
	ds_load_b128 v[8:11], v110 offset:20944
	s_waitcnt vmcnt(1) lgkmcnt(1)
	v_mul_f64 v[12:13], v[2:3], v[52:53]
	scratch_store_b128 off, v[50:53], off offset:512 ; 16-byte Folded Spill
	v_fma_f64 v[48:49], v[0:1], v[50:51], -v[12:13]
	v_mul_f64 v[0:1], v[0:1], v[52:53]
	s_delay_alu instid0(VALU_DEP_1) | instskip(SKIP_4) | instid1(VALU_DEP_1)
	v_fma_f64 v[50:51], v[2:3], v[50:51], v[0:1]
	ds_load_b128 v[0:3], v110 offset:26656
	ds_load_b128 v[12:15], v110 offset:28560
	s_waitcnt vmcnt(0) lgkmcnt(1)
	v_mul_f64 v[52:53], v[2:3], v[196:197]
	v_fma_f64 v[52:53], v[0:1], v[194:195], -v[52:53]
	v_mul_f64 v[0:1], v[0:1], v[196:197]
	s_delay_alu instid0(VALU_DEP_1) | instskip(SKIP_1) | instid1(VALU_DEP_1)
	v_fma_f64 v[54:55], v[2:3], v[194:195], v[0:1]
	v_add_co_u32 v0, s1, 0x5000, v24
	v_add_co_ci_u32_e64 v1, s1, 0, v25, s1
	s_clause 0x1
	global_load_b128 v[62:65], v[0:1], off offset:4000
	global_load_b128 v[58:61], v[42:43], off offset:32
	s_waitcnt vmcnt(1)
	v_mul_f64 v[0:1], v[6:7], v[64:65]
	scratch_store_b128 off, v[62:65], off offset:544 ; 16-byte Folded Spill
	s_waitcnt vmcnt(0)
	scratch_store_b128 off, v[58:61], off offset:528 ; 16-byte Folded Spill
	v_fma_f64 v[24:25], v[4:5], v[62:63], -v[0:1]
	v_mul_f64 v[0:1], v[4:5], v[64:65]
	s_delay_alu instid0(VALU_DEP_1) | instskip(SKIP_1) | instid1(VALU_DEP_1)
	v_fma_f64 v[42:43], v[6:7], v[62:63], v[0:1]
	v_mul_f64 v[0:1], v[10:11], v[192:193]
	v_fma_f64 v[56:57], v[8:9], v[190:191], -v[0:1]
	v_mul_f64 v[0:1], v[8:9], v[192:193]
	s_delay_alu instid0(VALU_DEP_1) | instskip(SKIP_2) | instid1(VALU_DEP_1)
	v_fma_f64 v[8:9], v[10:11], v[190:191], v[0:1]
	s_waitcnt lgkmcnt(0)
	v_mul_f64 v[0:1], v[14:15], v[60:61]
	v_fma_f64 v[10:11], v[12:13], v[58:59], -v[0:1]
	v_mul_f64 v[0:1], v[12:13], v[60:61]
	s_delay_alu instid0(VALU_DEP_2) | instskip(NEXT) | instid1(VALU_DEP_2)
	v_add_f64 v[10:11], v[24:25], -v[10:11]
	v_fma_f64 v[12:13], v[14:15], v[58:59], v[0:1]
	ds_load_b128 v[0:3], v110
	ds_load_b128 v[4:7], v110 offset:1904
	s_waitcnt lgkmcnt(1)
	v_add_f64 v[14:15], v[0:1], -v[30:31]
	v_add_f64 v[30:31], v[2:3], -v[32:33]
	s_waitcnt lgkmcnt(0)
	v_add_f64 v[60:61], v[4:5], -v[16:17]
	v_add_f64 v[62:63], v[6:7], -v[18:19]
	;; [unrolled: 1-line block ×5, first 2 shown]
	v_fma_f64 v[32:33], v[0:1], 2.0, -v[14:15]
	v_fma_f64 v[58:59], v[2:3], 2.0, -v[30:31]
	v_fma_f64 v[64:65], v[4:5], 2.0, -v[60:61]
	v_fma_f64 v[66:67], v[6:7], 2.0, -v[62:63]
	v_fma_f64 v[26:27], v[26:27], 2.0, -v[16:17]
	v_fma_f64 v[28:29], v[28:29], 2.0, -v[18:19]
	v_add_f64 v[136:137], v[14:15], -v[18:19]
	v_add_f64 v[138:139], v[30:31], v[16:17]
	v_add_f64 v[16:17], v[38:39], -v[20:21]
	v_add_f64 v[18:19], v[40:41], -v[22:23]
	ds_load_b128 v[0:3], v110 offset:3808
	ds_load_b128 v[4:7], v110 offset:5712
	s_waitcnt lgkmcnt(1)
	v_add_f64 v[48:49], v[0:1], -v[48:49]
	v_add_f64 v[50:51], v[2:3], -v[50:51]
	s_waitcnt lgkmcnt(0)
	v_add_f64 v[56:57], v[4:5], -v[56:57]
	v_add_f64 v[8:9], v[6:7], -v[8:9]
	;; [unrolled: 1-line block ×4, first 2 shown]
	v_fma_f64 v[20:21], v[38:39], 2.0, -v[16:17]
	v_fma_f64 v[22:23], v[40:41], 2.0, -v[18:19]
	v_add_f64 v[240:241], v[60:61], -v[18:19]
	v_add_f64 v[242:243], v[62:63], v[16:17]
	v_add_f64 v[16:17], v[44:45], -v[52:53]
	v_add_f64 v[18:19], v[46:47], -v[54:55]
	v_fma_f64 v[0:1], v[0:1], 2.0, -v[48:49]
	v_fma_f64 v[2:3], v[2:3], 2.0, -v[50:51]
	;; [unrolled: 1-line block ×4, first 2 shown]
	v_add_f64 v[212:213], v[56:57], -v[12:13]
	v_add_f64 v[214:215], v[8:9], v[10:11]
	v_fma_f64 v[208:209], v[32:33], 2.0, -v[160:161]
	v_fma_f64 v[210:211], v[58:59], 2.0, -v[162:163]
	v_add_f64 v[248:249], v[64:65], -v[20:21]
	v_add_f64 v[250:251], v[66:67], -v[22:23]
	v_fma_f64 v[252:253], v[60:61], 2.0, -v[240:241]
	v_fma_f64 v[254:255], v[62:63], 2.0, -v[242:243]
	;; [unrolled: 1-line block ×4, first 2 shown]
	v_add_f64 v[224:225], v[48:49], -v[18:19]
	v_add_f64 v[226:227], v[50:51], v[16:17]
	v_fma_f64 v[16:17], v[24:25], 2.0, -v[10:11]
	v_fma_f64 v[18:19], v[42:43], 2.0, -v[12:13]
	v_fma_f64 v[220:221], v[56:57], 2.0, -v[212:213]
	v_fma_f64 v[222:223], v[8:9], 2.0, -v[214:215]
	v_fma_f64 v[152:153], v[64:65], 2.0, -v[248:249]
	v_fma_f64 v[154:155], v[66:67], 2.0, -v[250:251]
	v_add_f64 v[232:233], v[0:1], -v[34:35]
	v_add_f64 v[234:235], v[2:3], -v[36:37]
	v_fma_f64 v[236:237], v[48:49], 2.0, -v[224:225]
	v_fma_f64 v[238:239], v[50:51], 2.0, -v[226:227]
	v_add_f64 v[216:217], v[4:5], -v[16:17]
	v_add_f64 v[218:219], v[6:7], -v[18:19]
	v_fma_f64 v[16:17], v[14:15], 2.0, -v[136:137]
	v_fma_f64 v[18:19], v[30:31], 2.0, -v[138:139]
	;; [unrolled: 1-line block ×6, first 2 shown]
	ds_store_b128 v110, v[136:139] offset:22848
	ds_store_b128 v110, v[240:243] offset:24752
	;; [unrolled: 1-line block ×12, first 2 shown]
	ds_store_b128 v110, v[208:211]
	ds_store_b128 v110, v[152:155] offset:1904
	ds_store_b128 v110, v[244:247] offset:3808
	ds_store_b128 v110, v[228:231] offset:5712
	s_waitcnt lgkmcnt(0)
	s_waitcnt_vscnt null, 0x0
	s_barrier
	buffer_gl0_inv
	s_and_saveexec_b32 s8, vcc_lo
	s_cbranch_execz .LBB0_13
; %bb.12:
	scratch_load_b32 v88, off, off offset:508 ; 4-byte Folded Reload
	s_add_u32 s2, s12, 0x7700
	s_addc_u32 s3, s13, 0
	v_dual_mov_b32 v76, v198 :: v_dual_mov_b32 v77, v199
	v_dual_mov_b32 v78, v200 :: v_dual_mov_b32 v79, v201
	s_waitcnt vmcnt(0)
	s_clause 0x2
	global_load_b128 v[2:5], v88, s[2:3]
	global_load_b128 v[6:9], v88, s[2:3] offset:1792
	global_load_b128 v[10:13], v88, s[2:3] offset:3584
	v_add_co_u32 v0, s1, s2, v88
	s_delay_alu instid0(VALU_DEP_1) | instskip(SKIP_1) | instid1(VALU_DEP_3)
	v_add_co_ci_u32_e64 v1, null, s3, 0, s1
	v_or_b32_e32 v40, 0x3800, v88
	v_add_co_u32 v14, s1, 0x1000, v0
	s_delay_alu instid0(VALU_DEP_1) | instskip(SKIP_4) | instid1(VALU_DEP_1)
	v_add_co_ci_u32_e64 v15, s1, 0, v1, s1
	s_clause 0x1
	global_load_b128 v[200:203], v[14:15], off offset:1280
	global_load_b128 v[20:23], v[14:15], off offset:3072
	v_add_co_u32 v14, s1, 0x2000, v0
	v_add_co_ci_u32_e64 v15, s1, 0, v1, s1
	s_clause 0x1
	global_load_b128 v[32:35], v[14:15], off offset:768
	global_load_b128 v[24:27], v[14:15], off offset:2560
	v_add_co_u32 v14, s1, 0x3000, v0
	s_delay_alu instid0(VALU_DEP_1)
	v_add_co_ci_u32_e64 v15, s1, 0, v1, s1
	ds_load_b128 v[36:39], v110
	global_load_b128 v[40:43], v40, s[2:3]
	v_add_co_u32 v52, s1, 0x4000, v0
	global_load_b128 v[28:31], v[14:15], off offset:256
	v_add_co_ci_u32_e64 v53, s1, 0, v1, s1
	v_add_co_u32 v62, s1, 0x5000, v0
	s_delay_alu instid0(VALU_DEP_1) | instskip(SKIP_1) | instid1(VALU_DEP_1)
	v_add_co_ci_u32_e64 v63, s1, 0, v1, s1
	v_add_co_u32 v0, s1, 0x6000, v0
	v_add_co_ci_u32_e64 v1, s1, 0, v1, s1
	s_waitcnt vmcnt(8) lgkmcnt(0)
	v_mul_f64 v[44:45], v[38:39], v[4:5]
	v_mul_f64 v[4:5], v[36:37], v[4:5]
	s_delay_alu instid0(VALU_DEP_2) | instskip(NEXT) | instid1(VALU_DEP_2)
	v_fma_f64 v[36:37], v[36:37], v[2:3], -v[44:45]
	v_fma_f64 v[38:39], v[38:39], v[2:3], v[4:5]
	global_load_b128 v[2:5], v[14:15], off offset:3840
	ds_store_b128 v110, v[36:39]
	ds_load_b128 v[36:39], v88 offset:1792
	ds_load_b128 v[44:47], v88 offset:3584
	global_load_b128 v[48:51], v[52:53], off offset:1536
	ds_load_b128 v[68:71], v88 offset:8960
	ds_load_b128 v[164:167], v88 offset:16128
	s_waitcnt vmcnt(9) lgkmcnt(3)
	v_mul_f64 v[54:55], v[38:39], v[8:9]
	v_mul_f64 v[8:9], v[36:37], v[8:9]
	s_waitcnt vmcnt(8) lgkmcnt(2)
	v_mul_f64 v[56:57], v[46:47], v[12:13]
	v_mul_f64 v[58:59], v[44:45], v[12:13]
	ds_load_b128 v[12:15], v88 offset:5376
	v_fma_f64 v[36:37], v[36:37], v[6:7], -v[54:55]
	v_fma_f64 v[38:39], v[38:39], v[6:7], v[8:9]
	global_load_b128 v[6:9], v[52:53], off offset:3328
	ds_load_b128 v[52:55], v88 offset:7168
	s_waitcnt vmcnt(8) lgkmcnt(1)
	v_mul_f64 v[60:61], v[14:15], v[202:203]
	v_fma_f64 v[44:45], v[44:45], v[10:11], -v[56:57]
	v_mul_f64 v[56:57], v[12:13], v[202:203]
	v_fma_f64 v[46:47], v[46:47], v[10:11], v[58:59]
	s_waitcnt vmcnt(7) lgkmcnt(0)
	v_mul_f64 v[64:65], v[54:55], v[22:23]
	v_mul_f64 v[22:23], v[52:53], v[22:23]
	v_fma_f64 v[10:11], v[12:13], v[200:201], -v[60:61]
	v_fma_f64 v[12:13], v[14:15], v[200:201], v[56:57]
	global_load_b128 v[56:59], v[62:63], off offset:1024
	v_fma_f64 v[52:53], v[52:53], v[20:21], -v[64:65]
	v_fma_f64 v[54:55], v[54:55], v[20:21], v[22:23]
	ds_load_b128 v[20:23], v88 offset:10752
	s_waitcnt vmcnt(7)
	v_mul_f64 v[14:15], v[70:71], v[34:35]
	v_mul_f64 v[34:35], v[68:69], v[34:35]
	s_delay_alu instid0(VALU_DEP_2) | instskip(SKIP_3) | instid1(VALU_DEP_4)
	v_fma_f64 v[68:69], v[68:69], v[32:33], -v[14:15]
	s_waitcnt vmcnt(6) lgkmcnt(0)
	v_mul_f64 v[14:15], v[22:23], v[26:27]
	v_mul_f64 v[26:27], v[20:21], v[26:27]
	v_fma_f64 v[70:71], v[70:71], v[32:33], v[34:35]
	ds_load_b128 v[32:35], v88 offset:12544
	v_fma_f64 v[20:21], v[20:21], v[24:25], -v[14:15]
	v_fma_f64 v[22:23], v[22:23], v[24:25], v[26:27]
	ds_load_b128 v[24:27], v88 offset:14336
	s_waitcnt vmcnt(4) lgkmcnt(1)
	v_mul_f64 v[14:15], v[34:35], v[30:31]
	v_mul_f64 v[60:61], v[32:33], v[30:31]
	s_delay_alu instid0(VALU_DEP_2) | instskip(NEXT) | instid1(VALU_DEP_2)
	v_fma_f64 v[30:31], v[32:33], v[28:29], -v[14:15]
	v_fma_f64 v[32:33], v[34:35], v[28:29], v[60:61]
	s_waitcnt lgkmcnt(0)
	v_mul_f64 v[14:15], v[26:27], v[42:43]
	v_mul_f64 v[28:29], v[24:25], v[42:43]
	s_delay_alu instid0(VALU_DEP_2) | instskip(NEXT) | instid1(VALU_DEP_2)
	v_fma_f64 v[24:25], v[24:25], v[40:41], -v[14:15]
	v_fma_f64 v[26:27], v[26:27], v[40:41], v[28:29]
	ds_load_b128 v[40:43], v88 offset:17920
	s_waitcnt vmcnt(3)
	v_mul_f64 v[14:15], v[166:167], v[4:5]
	v_mul_f64 v[4:5], v[164:165], v[4:5]
	s_delay_alu instid0(VALU_DEP_2) | instskip(SKIP_3) | instid1(VALU_DEP_4)
	v_fma_f64 v[164:165], v[164:165], v[2:3], -v[14:15]
	s_waitcnt vmcnt(2) lgkmcnt(0)
	v_mul_f64 v[14:15], v[42:43], v[50:51]
	v_mul_f64 v[28:29], v[40:41], v[50:51]
	v_fma_f64 v[166:167], v[166:167], v[2:3], v[4:5]
	ds_load_b128 v[2:5], v88 offset:19712
	v_fma_f64 v[40:41], v[40:41], v[48:49], -v[14:15]
	v_fma_f64 v[42:43], v[42:43], v[48:49], v[28:29]
	ds_load_b128 v[48:51], v88 offset:21504
	s_waitcnt vmcnt(1) lgkmcnt(1)
	v_mul_f64 v[14:15], v[4:5], v[8:9]
	v_mul_f64 v[8:9], v[2:3], v[8:9]
	s_delay_alu instid0(VALU_DEP_2) | instskip(NEXT) | instid1(VALU_DEP_2)
	v_fma_f64 v[2:3], v[2:3], v[6:7], -v[14:15]
	v_fma_f64 v[4:5], v[4:5], v[6:7], v[8:9]
	global_load_b128 v[6:9], v[62:63], off offset:2816
	s_waitcnt vmcnt(1) lgkmcnt(0)
	v_mul_f64 v[14:15], v[50:51], v[58:59]
	v_mul_f64 v[28:29], v[48:49], v[58:59]
	s_delay_alu instid0(VALU_DEP_2) | instskip(NEXT) | instid1(VALU_DEP_2)
	v_fma_f64 v[48:49], v[48:49], v[56:57], -v[14:15]
	v_fma_f64 v[50:51], v[50:51], v[56:57], v[28:29]
	global_load_b128 v[56:59], v[0:1], off offset:512
	ds_load_b128 v[200:203], v88 offset:23296
	ds_load_b128 v[64:67], v88 offset:25088
	s_waitcnt vmcnt(1) lgkmcnt(1)
	v_mul_f64 v[14:15], v[202:203], v[8:9]
	v_mul_f64 v[8:9], v[200:201], v[8:9]
	s_delay_alu instid0(VALU_DEP_2) | instskip(NEXT) | instid1(VALU_DEP_2)
	v_fma_f64 v[200:201], v[200:201], v[6:7], -v[14:15]
	v_fma_f64 v[202:203], v[202:203], v[6:7], v[8:9]
	s_waitcnt vmcnt(0) lgkmcnt(0)
	v_mul_f64 v[6:7], v[66:67], v[58:59]
	v_mul_f64 v[8:9], v[64:65], v[58:59]
	s_delay_alu instid0(VALU_DEP_2) | instskip(NEXT) | instid1(VALU_DEP_2)
	v_fma_f64 v[6:7], v[64:65], v[56:57], -v[6:7]
	v_fma_f64 v[8:9], v[66:67], v[56:57], v[8:9]
	global_load_b128 v[56:59], v[0:1], off offset:2304
	v_or_b32_e32 v0, 0x7000, v88
	global_load_b128 v[64:67], v0, s[2:3]
	ds_load_b128 v[72:75], v88 offset:26880
	ds_load_b128 v[60:63], v88 offset:28672
	ds_store_b128 v88, v[36:39] offset:1792
	ds_store_b128 v88, v[44:47] offset:3584
	;; [unrolled: 1-line block ×13, first 2 shown]
	v_dual_mov_b32 v201, v79 :: v_dual_mov_b32 v200, v78
	v_dual_mov_b32 v199, v77 :: v_dual_mov_b32 v198, v76
	s_waitcnt vmcnt(1) lgkmcnt(14)
	v_mul_f64 v[0:1], v[74:75], v[58:59]
	v_mul_f64 v[14:15], v[72:73], v[58:59]
	s_delay_alu instid0(VALU_DEP_2) | instskip(NEXT) | instid1(VALU_DEP_2)
	v_fma_f64 v[72:73], v[72:73], v[56:57], -v[0:1]
	v_fma_f64 v[74:75], v[74:75], v[56:57], v[14:15]
	s_waitcnt vmcnt(0) lgkmcnt(13)
	v_mul_f64 v[0:1], v[62:63], v[66:67]
	v_mul_f64 v[14:15], v[60:61], v[66:67]
	s_delay_alu instid0(VALU_DEP_2) | instskip(NEXT) | instid1(VALU_DEP_2)
	v_fma_f64 v[56:57], v[60:61], v[64:65], -v[0:1]
	v_fma_f64 v[58:59], v[62:63], v[64:65], v[14:15]
	ds_store_b128 v88, v[6:9] offset:25088
	ds_store_b128 v88, v[72:75] offset:26880
	;; [unrolled: 1-line block ×3, first 2 shown]
.LBB0_13:
	s_or_b32 exec_lo, exec_lo, s8
	s_waitcnt lgkmcnt(0)
	s_barrier
	buffer_gl0_inv
	s_and_saveexec_b32 s1, vcc_lo
	s_cbranch_execz .LBB0_15
; %bb.14:
	ds_load_b128 v[208:211], v110
	ds_load_b128 v[16:19], v110 offset:1792
	ds_load_b128 v[160:163], v110 offset:3584
	;; [unrolled: 1-line block ×16, first 2 shown]
.LBB0_15:
	s_or_b32 exec_lo, exec_lo, s1
	s_waitcnt lgkmcnt(0)
	v_add_f64 v[22:23], v[18:19], -v[206:207]
	s_mov_b32 s16, 0x5d8e7cdc
	s_mov_b32 s17, 0xbfd71e95
	v_add_f64 v[20:21], v[204:205], v[16:17]
	v_add_f64 v[70:71], v[162:163], -v[214:215]
	s_mov_b32 s2, 0x370991
	s_mov_b32 s18, 0x2a9d6da3
	;; [unrolled: 1-line block ×4, first 2 shown]
	v_add_f64 v[14:15], v[212:213], v[160:161]
	v_add_f64 v[56:57], v[206:207], v[18:19]
	s_mov_b32 s8, 0x75d4884
	s_mov_b32 s9, 0x3fe7a5f6
	v_add_f64 v[58:59], v[16:17], -v[204:205]
	v_add_f64 v[32:33], v[214:215], v[162:163]
	v_add_f64 v[12:13], v[160:161], -v[212:213]
	v_add_f64 v[78:79], v[138:139], -v[218:219]
	s_mov_b32 s30, 0x7c9e640b
	s_mov_b32 s31, 0xbfeca52d
	v_add_f64 v[34:35], v[136:137], v[216:217]
	v_add_f64 v[40:41], v[138:139], v[218:219]
	s_mov_b32 s10, 0x2b2883cd
	s_mov_b32 s11, 0x3fdc86fa
	v_add_f64 v[24:25], v[136:137], -v[216:217]
	v_add_f64 v[10:11], v[154:155], -v[222:223]
	s_mov_b32 s40, 0xeb564b22
	s_mov_b32 s41, 0xbfefdd0d
	v_add_f64 v[168:169], v[152:153], v[220:221]
	v_add_f64 v[50:51], v[154:155], v[222:223]
	s_mov_b32 s20, 0x3259b75e
	s_mov_b32 s21, 0x3fb79ee6
	v_add_f64 v[28:29], v[152:153], -v[220:221]
	v_add_f64 v[26:27], v[254:255], -v[230:231]
	s_mov_b32 s42, 0x923c349f
	s_mov_b32 s43, 0xbfeec746
	v_add_f64 v[48:49], v[228:229], v[252:253]
	v_add_f64 v[42:43], v[230:231], v[254:255]
	s_mov_b32 s22, 0xc61f0d01
	v_mul_f64 v[114:115], v[22:23], s[16:17]
	s_mov_b32 s23, 0xbfd183b1
	v_add_f64 v[36:37], v[252:253], -v[228:229]
	v_add_f64 v[88:89], v[226:227], v[250:251]
	v_mul_f64 v[90:91], v[70:71], s[18:19]
	s_mov_b32 s24, 0x6ed5f1bb
	s_mov_b32 s25, 0xbfe348c8
	v_add_f64 v[44:45], v[248:249], -v[224:225]
	v_add_f64 v[30:31], v[250:251], -v[226:227]
	s_mov_b32 s26, 0x910ea3b9
	v_mul_f64 v[124:125], v[56:57], s[2:3]
	s_mov_b32 s27, 0xbfeb34fa
	v_add_f64 v[68:69], v[224:225], v[248:249]
	v_add_f64 v[52:53], v[240:241], -v[232:233]
	v_mul_f64 v[92:93], v[32:33], s[8:9]
	s_mov_b32 s38, 0x4363dd80
	v_mul_f64 v[94:95], v[78:79], s[30:31]
	s_mov_b32 s39, 0xbfe0d888
	v_add_f64 v[38:39], v[242:243], -v[234:235]
	v_add_f64 v[76:77], v[240:241], v[232:233]
	v_mul_f64 v[96:97], v[40:41], s[10:11]
	s_mov_b32 s36, 0xacd6c6b4
	s_mov_b32 s37, 0xbfc7851a
	v_add_f64 v[108:109], v[244:245], v[236:237]
	v_mul_f64 v[98:99], v[10:11], s[40:41]
	s_mov_b32 s28, 0x7faef3
	s_mov_b32 s29, 0xbfef7484
	v_mul_f64 v[100:101], v[50:51], s[20:21]
	s_barrier
	buffer_gl0_inv
	v_mul_f64 v[102:103], v[26:27], s[42:43]
	v_mul_f64 v[118:119], v[42:43], s[22:23]
	v_fma_f64 v[0:1], v[20:21], s[2:3], -v[114:115]
	v_mul_f64 v[120:121], v[88:89], s[24:25]
	v_fma_f64 v[2:3], v[14:15], s[8:9], -v[90:91]
	v_mul_f64 v[116:117], v[30:31], s[34:35]
	v_fma_f64 v[4:5], v[12:13], s[18:19], v[92:93]
	v_add_f64 v[0:1], v[208:209], v[0:1]
	v_fma_f64 v[6:7], v[44:45], s[34:35], v[120:121]
	s_delay_alu instid0(VALU_DEP_2) | instskip(SKIP_1) | instid1(VALU_DEP_1)
	v_add_f64 v[0:1], v[2:3], v[0:1]
	v_fma_f64 v[2:3], v[58:59], s[16:17], v[124:125]
	v_add_f64 v[2:3], v[210:211], v[2:3]
	s_delay_alu instid0(VALU_DEP_1) | instskip(SKIP_1) | instid1(VALU_DEP_1)
	v_add_f64 v[2:3], v[4:5], v[2:3]
	v_fma_f64 v[4:5], v[34:35], s[10:11], -v[94:95]
	v_add_f64 v[0:1], v[4:5], v[0:1]
	v_fma_f64 v[4:5], v[24:25], s[30:31], v[96:97]
	s_delay_alu instid0(VALU_DEP_1) | instskip(SKIP_1) | instid1(VALU_DEP_1)
	v_add_f64 v[2:3], v[4:5], v[2:3]
	v_fma_f64 v[4:5], v[168:169], s[20:21], -v[98:99]
	v_add_f64 v[0:1], v[4:5], v[0:1]
	v_fma_f64 v[4:5], v[28:29], s[40:41], v[100:101]
	;; [unrolled: 5-line block ×3, first 2 shown]
	s_delay_alu instid0(VALU_DEP_1) | instskip(SKIP_1) | instid1(VALU_DEP_2)
	v_add_f64 v[2:3], v[4:5], v[2:3]
	v_fma_f64 v[4:5], v[68:69], s[24:25], -v[116:117]
	v_add_f64 v[6:7], v[6:7], v[2:3]
	v_add_f64 v[2:3], v[242:243], v[234:235]
	s_delay_alu instid0(VALU_DEP_3) | instskip(SKIP_1) | instid1(VALU_DEP_3)
	v_add_f64 v[4:5], v[4:5], v[0:1]
	v_mul_f64 v[0:1], v[38:39], s[38:39]
	v_mul_f64 v[122:123], v[2:3], s[26:27]
	s_delay_alu instid0(VALU_DEP_2) | instskip(NEXT) | instid1(VALU_DEP_2)
	v_fma_f64 v[8:9], v[76:77], s[26:27], -v[0:1]
	v_fma_f64 v[46:47], v[52:53], s[38:39], v[122:123]
	s_delay_alu instid0(VALU_DEP_2) | instskip(SKIP_1) | instid1(VALU_DEP_3)
	v_add_f64 v[8:9], v[8:9], v[4:5]
	v_add_f64 v[4:5], v[246:247], v[238:239]
	;; [unrolled: 1-line block ×3, first 2 shown]
	v_add_f64 v[46:47], v[246:247], -v[238:239]
	s_delay_alu instid0(VALU_DEP_1) | instskip(NEXT) | instid1(VALU_DEP_1)
	v_mul_f64 v[6:7], v[46:47], s[36:37]
	v_fma_f64 v[54:55], v[108:109], s[28:29], -v[6:7]
	s_delay_alu instid0(VALU_DEP_1) | instskip(SKIP_2) | instid1(VALU_DEP_1)
	v_add_f64 v[164:165], v[54:55], v[8:9]
	v_add_f64 v[54:55], v[244:245], -v[236:237]
	v_mul_f64 v[8:9], v[4:5], s[28:29]
	v_fma_f64 v[62:63], v[54:55], s[36:37], v[8:9]
	s_delay_alu instid0(VALU_DEP_1)
	v_add_f64 v[166:167], v[62:63], v[60:61]
	s_and_saveexec_b32 s1, vcc_lo
	s_cbranch_execz .LBB0_17
; %bb.16:
	v_add_f64 v[18:19], v[210:211], v[18:19]
	v_add_f64 v[16:17], v[208:209], v[16:17]
	v_mul_f64 v[60:61], v[58:59], s[36:37]
	v_mul_f64 v[64:65], v[58:59], s[38:39]
	v_mul_f64 v[72:73], v[58:59], s[34:35]
	s_mov_b32 s51, 0x3fd71e95
	s_mov_b32 s50, s16
	;; [unrolled: 1-line block ×8, first 2 shown]
	s_clause 0x1
	scratch_store_b128 off, v[80:83], off offset:648
	scratch_store_b128 off, v[84:87], off offset:664
	v_mul_f64 v[84:85], v[54:55], s[46:47]
	v_mul_f64 v[80:81], v[38:39], s[42:43]
	s_mov_b32 s53, 0x3fe9895b
	s_mov_b32 s52, s34
	;; [unrolled: 1-line block ×6, first 2 shown]
	v_mul_f64 v[128:129], v[28:29], s[50:51]
	v_mul_f64 v[132:133], v[36:37], s[30:31]
	v_add_f64 v[18:19], v[162:163], v[18:19]
	v_add_f64 v[16:17], v[160:161], v[16:17]
	v_mul_f64 v[160:161], v[58:59], s[30:31]
	v_fma_f64 v[62:63], v[56:57], s[28:29], v[60:61]
	v_fma_f64 v[60:61], v[56:57], s[28:29], -v[60:61]
	v_fma_f64 v[66:67], v[56:57], s[26:27], v[64:65]
	v_fma_f64 v[64:65], v[56:57], s[26:27], -v[64:65]
	;; [unrolled: 2-line block ×4, first 2 shown]
	v_fma_f64 v[130:131], v[50:51], s[2:3], -v[128:129]
	v_add_f64 v[18:19], v[138:139], v[18:19]
	v_add_f64 v[16:17], v[136:137], v[16:17]
	v_mul_f64 v[136:137], v[58:59], s[42:43]
	v_fma_f64 v[162:163], v[56:57], s[10:11], v[160:161]
	v_fma_f64 v[160:161], v[56:57], s[10:11], -v[160:161]
	v_add_f64 v[62:63], v[210:211], v[62:63]
	v_add_f64 v[60:61], v[210:211], v[60:61]
	;; [unrolled: 1-line block ×6, first 2 shown]
	v_mul_f64 v[152:153], v[58:59], s[40:41]
	v_fma_f64 v[138:139], v[56:57], s[22:23], v[136:137]
	v_fma_f64 v[136:137], v[56:57], s[22:23], -v[136:137]
	v_add_f64 v[160:161], v[210:211], v[160:161]
	v_add_f64 v[18:19], v[254:255], v[18:19]
	;; [unrolled: 1-line block ×3, first 2 shown]
	v_fma_f64 v[154:155], v[56:57], s[20:21], v[152:153]
	v_fma_f64 v[152:153], v[56:57], s[20:21], -v[152:153]
	v_mul_f64 v[254:255], v[52:53], s[42:43]
	v_mul_f64 v[252:253], v[52:53], s[44:45]
	v_add_f64 v[18:19], v[250:251], v[18:19]
	v_add_f64 v[16:17], v[248:249], v[16:17]
	;; [unrolled: 1-line block ×4, first 2 shown]
	s_delay_alu instid0(VALU_DEP_4) | instskip(NEXT) | instid1(VALU_DEP_4)
	v_add_f64 v[18:19], v[242:243], v[18:19]
	v_add_f64 v[16:17], v[240:241], v[16:17]
	;; [unrolled: 1-line block ×3, first 2 shown]
	v_mul_f64 v[240:241], v[12:13], s[40:41]
	s_delay_alu instid0(VALU_DEP_4) | instskip(NEXT) | instid1(VALU_DEP_4)
	v_add_f64 v[18:19], v[246:247], v[18:19]
	v_add_f64 v[16:17], v[244:245], v[16:17]
	;; [unrolled: 1-line block ×3, first 2 shown]
	v_dual_mov_b32 v244, v113 :: v_dual_mov_b32 v113, v111
	v_mov_b32_e32 v245, v112
	v_mul_f64 v[111:112], v[44:45], s[16:17]
	v_add_f64 v[18:19], v[238:239], v[18:19]
	v_add_f64 v[16:17], v[236:237], v[16:17]
	s_delay_alu instid0(VALU_DEP_2) | instskip(NEXT) | instid1(VALU_DEP_2)
	v_add_f64 v[18:19], v[234:235], v[18:19]
	v_add_f64 v[16:17], v[232:233], v[16:17]
	s_delay_alu instid0(VALU_DEP_2) | instskip(NEXT) | instid1(VALU_DEP_2)
	;; [unrolled: 3-line block ×4, first 2 shown]
	v_add_f64 v[18:19], v[222:223], v[18:19]
	v_add_f64 v[16:17], v[220:221], v[16:17]
	v_mul_f64 v[220:221], v[22:23], s[30:31]
	s_delay_alu instid0(VALU_DEP_3) | instskip(NEXT) | instid1(VALU_DEP_3)
	v_add_f64 v[18:19], v[218:219], v[18:19]
	v_add_f64 v[16:17], v[216:217], v[16:17]
	v_mul_f64 v[216:217], v[22:23], s[42:43]
	v_mul_f64 v[218:219], v[22:23], s[40:41]
	v_fma_f64 v[232:233], v[20:21], s[10:11], -v[220:221]
	v_fma_f64 v[220:221], v[20:21], s[10:11], v[220:221]
	v_add_f64 v[18:19], v[214:215], v[18:19]
	v_add_f64 v[16:17], v[212:213], v[16:17]
	v_mul_f64 v[214:215], v[22:23], s[34:35]
	v_fma_f64 v[228:229], v[20:21], s[22:23], -v[216:217]
	v_fma_f64 v[216:217], v[20:21], s[22:23], v[216:217]
	v_fma_f64 v[230:231], v[20:21], s[20:21], -v[218:219]
	v_fma_f64 v[218:219], v[20:21], s[20:21], v[218:219]
	v_add_f64 v[18:19], v[206:207], v[18:19]
	v_add_f64 v[16:17], v[204:205], v[16:17]
	v_mul_f64 v[204:205], v[58:59], s[18:19]
	v_fma_f64 v[226:227], v[20:21], s[24:25], -v[214:215]
	v_fma_f64 v[214:215], v[20:21], s[24:25], v[214:215]
	v_add_f64 v[216:217], v[208:209], v[216:217]
	v_add_f64 v[218:219], v[208:209], v[218:219]
	scratch_store_b128 off, v[16:19], off offset:680 ; 16-byte Folded Spill
	v_fma_f64 v[206:207], v[56:57], s[8:9], v[204:205]
	v_fma_f64 v[204:205], v[56:57], s[8:9], -v[204:205]
	v_mul_f64 v[56:57], v[58:59], s[16:17]
	v_add_f64 v[16:17], v[208:209], v[226:227]
	v_mul_f64 v[58:59], v[22:23], s[38:39]
	v_add_f64 v[214:215], v[208:209], v[214:215]
	v_add_f64 v[152:153], v[210:211], v[204:205]
	v_add_f64 v[212:213], v[124:125], -v[56:57]
	v_mul_f64 v[56:57], v[22:23], s[36:37]
	v_mul_f64 v[22:23], v[22:23], s[18:19]
	scratch_store_b64 off, v[16:17], off offset:824 ; 8-byte Folded Spill
	v_add_f64 v[16:17], v[210:211], v[138:139]
	v_fma_f64 v[224:225], v[20:21], s[26:27], -v[58:59]
	v_fma_f64 v[58:59], v[20:21], s[26:27], v[58:59]
	v_mul_f64 v[204:205], v[24:25], s[38:39]
	v_add_f64 v[72:73], v[210:211], v[212:213]
	v_fma_f64 v[222:223], v[20:21], s[28:29], -v[56:57]
	v_fma_f64 v[56:57], v[20:21], s[28:29], v[56:57]
	v_fma_f64 v[234:235], v[20:21], s[8:9], -v[22:23]
	v_fma_f64 v[22:23], v[20:21], s[8:9], v[22:23]
	v_mul_f64 v[20:21], v[20:21], s[2:3]
	scratch_store_b64 off, v[16:17], off offset:800 ; 8-byte Folded Spill
	v_add_f64 v[16:17], v[208:209], v[228:229]
	v_fma_f64 v[138:139], v[40:41], s[26:27], v[204:205]
	v_add_f64 v[224:225], v[208:209], v[224:225]
	v_add_f64 v[238:239], v[208:209], v[58:59]
	v_mov_b32_e32 v58, v70
	v_mul_f64 v[212:213], v[36:37], s[34:35]
	v_mul_f64 v[228:229], v[10:11], s[36:37]
	v_mov_b32_e32 v59, v71
	v_add_f64 v[222:223], v[208:209], v[222:223]
	v_add_f64 v[236:237], v[208:209], v[56:57]
	;; [unrolled: 1-line block ×3, first 2 shown]
	v_fma_f64 v[114:115], v[88:89], s[2:3], -v[111:112]
	scratch_store_b64 off, v[16:17], off offset:792 ; 8-byte Folded Spill
	v_add_f64 v[16:17], v[210:211], v[154:155]
	v_add_f64 v[154:155], v[208:209], v[22:23]
	;; [unrolled: 1-line block ×3, first 2 shown]
	v_mul_f64 v[20:21], v[12:13], s[50:51]
	scratch_store_b64 off, v[16:17], off offset:784 ; 8-byte Folded Spill
	v_add_f64 v[16:17], v[208:209], v[230:231]
	v_mul_f64 v[230:231], v[78:79], s[34:35]
	v_fma_f64 v[22:23], v[32:33], s[2:3], v[20:21]
	v_fma_f64 v[20:21], v[32:33], s[2:3], -v[20:21]
	scratch_store_b64 off, v[16:17], off offset:776 ; 8-byte Folded Spill
	v_add_f64 v[16:17], v[210:211], v[162:163]
	v_add_f64 v[162:163], v[208:209], v[220:221]
	v_mul_f64 v[220:221], v[26:27], s[34:35]
	v_add_f64 v[22:23], v[22:23], v[62:63]
	v_mul_f64 v[62:63], v[70:71], s[50:51]
	v_add_f64 v[20:21], v[20:21], v[60:61]
	scratch_store_b64 off, v[16:17], off offset:752 ; 8-byte Folded Spill
	v_add_f64 v[16:17], v[208:209], v[232:233]
	v_dual_mov_b32 v233, v79 :: v_dual_mov_b32 v232, v78
	v_add_f64 v[22:23], v[138:139], v[22:23]
	v_fma_f64 v[136:137], v[14:15], s[2:3], -v[62:63]
	v_fma_f64 v[60:61], v[14:15], s[2:3], v[62:63]
	v_fma_f64 v[62:63], v[40:41], s[26:27], -v[204:205]
	scratch_store_b64 off, v[16:17], off offset:744 ; 8-byte Folded Spill
	v_add_f64 v[16:17], v[210:211], v[206:207]
	v_mul_f64 v[206:207], v[78:79], s[38:39]
	v_mul_f64 v[210:211], v[10:11], s[48:49]
	v_add_f64 v[136:137], v[136:137], v[222:223]
	v_add_f64 v[60:61], v[60:61], v[236:237]
	;; [unrolled: 1-line block ×3, first 2 shown]
	v_mul_f64 v[222:223], v[44:45], s[44:45]
	v_mul_f64 v[236:237], v[46:47], s[42:43]
	scratch_store_b64 off, v[16:17], off offset:720 ; 8-byte Folded Spill
	v_add_f64 v[16:17], v[208:209], v[234:235]
	v_fma_f64 v[138:139], v[34:35], s[26:27], -v[206:207]
	v_mul_f64 v[208:209], v[28:29], s[48:49]
	v_fma_f64 v[62:63], v[34:35], s[26:27], v[206:207]
	v_mul_f64 v[234:235], v[30:31], s[44:45]
	scratch_store_b64 off, v[16:17], off offset:712 ; 8-byte Folded Spill
	v_add_f64 v[136:137], v[138:139], v[136:137]
	v_fma_f64 v[138:139], v[50:51], s[8:9], v[208:209]
	v_add_f64 v[60:61], v[62:63], v[60:61]
	v_fma_f64 v[62:63], v[50:51], s[8:9], -v[208:209]
	s_delay_alu instid0(VALU_DEP_3) | instskip(SKIP_1) | instid1(VALU_DEP_3)
	v_add_f64 v[22:23], v[138:139], v[22:23]
	v_fma_f64 v[138:139], v[168:169], s[8:9], -v[210:211]
	v_add_f64 v[20:21], v[62:63], v[20:21]
	v_fma_f64 v[62:63], v[168:169], s[8:9], v[210:211]
	s_delay_alu instid0(VALU_DEP_3) | instskip(SKIP_1) | instid1(VALU_DEP_3)
	v_add_f64 v[136:137], v[138:139], v[136:137]
	v_fma_f64 v[138:139], v[42:43], s[24:25], v[212:213]
	v_add_f64 v[60:61], v[62:63], v[60:61]
	v_fma_f64 v[62:63], v[42:43], s[24:25], -v[212:213]
	s_delay_alu instid0(VALU_DEP_3) | instskip(SKIP_1) | instid1(VALU_DEP_3)
	v_add_f64 v[22:23], v[138:139], v[22:23]
	v_fma_f64 v[138:139], v[48:49], s[24:25], -v[220:221]
	v_add_f64 v[20:21], v[62:63], v[20:21]
	v_fma_f64 v[62:63], v[48:49], s[24:25], v[220:221]
	s_delay_alu instid0(VALU_DEP_3) | instskip(SKIP_1) | instid1(VALU_DEP_3)
	v_add_f64 v[136:137], v[138:139], v[136:137]
	v_fma_f64 v[138:139], v[88:89], s[10:11], v[222:223]
	v_add_f64 v[60:61], v[62:63], v[60:61]
	v_fma_f64 v[62:63], v[88:89], s[10:11], -v[222:223]
	s_delay_alu instid0(VALU_DEP_3) | instskip(SKIP_1) | instid1(VALU_DEP_3)
	v_add_f64 v[22:23], v[138:139], v[22:23]
	v_fma_f64 v[138:139], v[68:69], s[10:11], -v[234:235]
	v_add_f64 v[20:21], v[62:63], v[20:21]
	v_fma_f64 v[62:63], v[68:69], s[10:11], v[234:235]
	v_mul_f64 v[234:235], v[54:55], s[42:43]
	s_delay_alu instid0(VALU_DEP_4) | instskip(SKIP_1) | instid1(VALU_DEP_4)
	v_add_f64 v[136:137], v[138:139], v[136:137]
	v_fma_f64 v[138:139], v[2:3], s[22:23], v[254:255]
	v_add_f64 v[60:61], v[62:63], v[60:61]
	v_fma_f64 v[62:63], v[2:3], s[22:23], -v[254:255]
	s_delay_alu instid0(VALU_DEP_4) | instskip(NEXT) | instid1(VALU_DEP_4)
	v_add_f64 v[82:83], v[82:83], v[136:137]
	v_add_f64 v[22:23], v[138:139], v[22:23]
	v_dual_mov_b32 v136, v178 :: v_dual_mov_b32 v137, v179
	s_delay_alu instid0(VALU_DEP_4) | instskip(SKIP_4) | instid1(VALU_DEP_4)
	v_add_f64 v[20:21], v[62:63], v[20:21]
	v_fma_f64 v[62:63], v[76:77], s[22:23], v[80:81]
	v_dual_mov_b32 v138, v180 :: v_dual_mov_b32 v139, v181
	v_add_f64 v[18:19], v[86:87], v[22:23]
	v_mul_f64 v[22:23], v[46:47], s[46:47]
	v_add_f64 v[60:61], v[62:63], v[60:61]
	v_fma_f64 v[62:63], v[4:5], s[20:21], -v[84:85]
	s_delay_alu instid0(VALU_DEP_3) | instskip(SKIP_1) | instid1(VALU_DEP_2)
	v_fma_f64 v[86:87], v[108:109], s[20:21], -v[22:23]
	v_fma_f64 v[80:81], v[108:109], s[20:21], v[22:23]
	v_add_f64 v[16:17], v[86:87], v[82:83]
	v_mul_f64 v[82:83], v[24:25], s[40:41]
	scratch_store_b128 off, v[16:19], off offset:696 ; 16-byte Folded Spill
	v_add_f64 v[16:17], v[80:81], v[60:61]
	v_mul_f64 v[80:81], v[12:13], s[44:45]
	v_fma_f64 v[84:85], v[40:41], s[20:21], v[82:83]
	v_add_f64 v[18:19], v[62:63], v[20:21]
	v_dual_mov_b32 v20, v174 :: v_dual_mov_b32 v21, v175
	v_mov_b32_e32 v22, v176
	v_fma_f64 v[60:61], v[32:33], s[10:11], v[80:81]
	v_fma_f64 v[80:81], v[32:33], s[10:11], -v[80:81]
	scratch_store_b128 off, v[16:19], off offset:728 ; 16-byte Folded Spill
	v_add_f64 v[60:61], v[60:61], v[66:67]
	v_mul_f64 v[66:67], v[70:71], s[44:45]
	v_add_f64 v[64:65], v[80:81], v[64:65]
	v_fma_f64 v[80:81], v[40:41], s[20:21], -v[82:83]
	v_fma_f64 v[82:83], v[108:109], s[22:23], v[236:237]
	v_add_f64 v[60:61], v[84:85], v[60:61]
	v_fma_f64 v[62:63], v[14:15], s[10:11], -v[66:67]
	v_mul_f64 v[84:85], v[78:79], s[40:41]
	v_fma_f64 v[66:67], v[14:15], s[10:11], v[66:67]
	v_add_f64 v[64:65], v[80:81], v[64:65]
	s_delay_alu instid0(VALU_DEP_4) | instskip(NEXT) | instid1(VALU_DEP_4)
	v_add_f64 v[62:63], v[62:63], v[224:225]
	v_fma_f64 v[86:87], v[34:35], s[20:21], -v[84:85]
	s_delay_alu instid0(VALU_DEP_4) | instskip(SKIP_2) | instid1(VALU_DEP_4)
	v_add_f64 v[66:67], v[66:67], v[238:239]
	v_fma_f64 v[80:81], v[34:35], s[20:21], v[84:85]
	v_mul_f64 v[84:85], v[24:25], s[30:31]
	v_add_f64 v[62:63], v[86:87], v[62:63]
	v_mul_f64 v[86:87], v[28:29], s[52:53]
	s_delay_alu instid0(VALU_DEP_4) | instskip(NEXT) | instid1(VALU_DEP_4)
	v_add_f64 v[66:67], v[80:81], v[66:67]
	v_add_f64 v[84:85], v[96:97], -v[84:85]
	v_mul_f64 v[96:97], v[70:71], s[34:35]
	s_delay_alu instid0(VALU_DEP_4) | instskip(SKIP_2) | instid1(VALU_DEP_3)
	v_fma_f64 v[204:205], v[50:51], s[24:25], v[86:87]
	v_fma_f64 v[80:81], v[50:51], s[24:25], -v[86:87]
	v_mul_f64 v[86:87], v[34:35], s[10:11]
	v_add_f64 v[60:61], v[204:205], v[60:61]
	v_mul_f64 v[204:205], v[10:11], s[52:53]
	s_delay_alu instid0(VALU_DEP_4) | instskip(NEXT) | instid1(VALU_DEP_4)
	v_add_f64 v[64:65], v[80:81], v[64:65]
	v_add_f64 v[86:87], v[86:87], v[94:95]
	s_delay_alu instid0(VALU_DEP_3) | instskip(SKIP_2) | instid1(VALU_DEP_3)
	v_fma_f64 v[206:207], v[168:169], s[24:25], -v[204:205]
	v_fma_f64 v[80:81], v[168:169], s[24:25], v[204:205]
	v_mul_f64 v[204:205], v[28:29], s[40:41]
	v_add_f64 v[62:63], v[206:207], v[62:63]
	v_mul_f64 v[206:207], v[36:37], s[16:17]
	s_delay_alu instid0(VALU_DEP_4) | instskip(NEXT) | instid1(VALU_DEP_4)
	v_add_f64 v[66:67], v[80:81], v[66:67]
	v_add_f64 v[204:205], v[100:101], -v[204:205]
	v_mul_f64 v[100:101], v[24:25], s[56:57]
	s_delay_alu instid0(VALU_DEP_4) | instskip(SKIP_2) | instid1(VALU_DEP_3)
	v_fma_f64 v[208:209], v[42:43], s[2:3], v[206:207]
	v_fma_f64 v[80:81], v[42:43], s[2:3], -v[206:207]
	v_mul_f64 v[206:207], v[168:169], s[20:21]
	v_add_f64 v[60:61], v[208:209], v[60:61]
	v_mul_f64 v[208:209], v[26:27], s[16:17]
	s_delay_alu instid0(VALU_DEP_4) | instskip(NEXT) | instid1(VALU_DEP_4)
	v_add_f64 v[64:65], v[80:81], v[64:65]
	v_add_f64 v[206:207], v[206:207], v[98:99]
	v_fma_f64 v[98:99], v[14:15], s[24:25], v[96:97]
	s_delay_alu instid0(VALU_DEP_4) | instskip(SKIP_3) | instid1(VALU_DEP_4)
	v_fma_f64 v[210:211], v[48:49], s[2:3], -v[208:209]
	v_fma_f64 v[80:81], v[48:49], s[2:3], v[208:209]
	v_mul_f64 v[208:209], v[36:37], s[42:43]
	s_mov_b32 s43, 0x3feec746
	v_add_f64 v[98:99], v[98:99], v[162:163]
	v_mul_f64 v[238:239], v[44:45], s[42:43]
	v_mul_f64 v[254:255], v[30:31], s[42:43]
	;; [unrolled: 1-line block ×3, first 2 shown]
	v_add_f64 v[62:63], v[210:211], v[62:63]
	v_mul_f64 v[210:211], v[44:45], s[36:37]
	v_add_f64 v[66:67], v[80:81], v[66:67]
	v_add_f64 v[208:209], v[118:119], -v[208:209]
	v_fma_f64 v[126:127], v[34:35], s[22:23], v[124:125]
	s_delay_alu instid0(VALU_DEP_4) | instskip(SKIP_2) | instid1(VALU_DEP_3)
	v_fma_f64 v[212:213], v[88:89], s[28:29], v[210:211]
	v_fma_f64 v[80:81], v[88:89], s[28:29], -v[210:211]
	v_mul_f64 v[210:211], v[48:49], s[22:23]
	v_add_f64 v[60:61], v[212:213], v[60:61]
	v_mul_f64 v[212:213], v[30:31], s[36:37]
	s_delay_alu instid0(VALU_DEP_4) | instskip(NEXT) | instid1(VALU_DEP_4)
	v_add_f64 v[64:65], v[80:81], v[64:65]
	v_add_f64 v[210:211], v[210:211], v[102:103]
	v_fma_f64 v[102:103], v[40:41], s[28:29], -v[100:101]
	s_delay_alu instid0(VALU_DEP_4) | instskip(SKIP_2) | instid1(VALU_DEP_3)
	v_fma_f64 v[220:221], v[68:69], s[28:29], -v[212:213]
	v_fma_f64 v[80:81], v[68:69], s[28:29], v[212:213]
	v_mul_f64 v[212:213], v[44:45], s[34:35]
	v_add_f64 v[62:63], v[220:221], v[62:63]
	v_mul_f64 v[220:221], v[52:53], s[48:49]
	s_delay_alu instid0(VALU_DEP_4) | instskip(NEXT) | instid1(VALU_DEP_4)
	v_add_f64 v[66:67], v[80:81], v[66:67]
	v_add_f64 v[212:213], v[120:121], -v[212:213]
	v_mul_f64 v[120:121], v[54:55], s[38:39]
	s_delay_alu instid0(VALU_DEP_4) | instskip(SKIP_1) | instid1(VALU_DEP_2)
	v_fma_f64 v[222:223], v[2:3], s[8:9], v[220:221]
	v_fma_f64 v[80:81], v[2:3], s[8:9], -v[220:221]
	v_add_f64 v[60:61], v[222:223], v[60:61]
	v_mul_f64 v[222:223], v[38:39], s[48:49]
	s_delay_alu instid0(VALU_DEP_3) | instskip(NEXT) | instid1(VALU_DEP_2)
	v_add_f64 v[64:65], v[80:81], v[64:65]
	v_fma_f64 v[224:225], v[76:77], s[8:9], -v[222:223]
	v_fma_f64 v[80:81], v[76:77], s[8:9], v[222:223]
	v_dual_mov_b32 v223, v197 :: v_dual_mov_b32 v220, v194
	v_dual_mov_b32 v222, v196 :: v_dual_mov_b32 v221, v195
	s_delay_alu instid0(VALU_DEP_4) | instskip(SKIP_4) | instid1(VALU_DEP_4)
	v_add_f64 v[224:225], v[224:225], v[62:63]
	v_fma_f64 v[62:63], v[4:5], s[22:23], v[234:235]
	v_add_f64 v[80:81], v[80:81], v[66:67]
	v_fma_f64 v[66:67], v[4:5], s[22:23], -v[234:235]
	v_mul_f64 v[234:235], v[36:37], s[54:55]
	v_add_f64 v[18:19], v[62:63], v[60:61]
	v_fma_f64 v[60:61], v[108:109], s[22:23], -v[236:237]
	v_mul_f64 v[236:237], v[26:27], s[54:55]
	v_dual_mov_b32 v63, v15 :: v_dual_mov_b32 v62, v14
	s_delay_alu instid0(VALU_DEP_3)
	v_add_f64 v[16:17], v[60:61], v[224:225]
	v_mul_f64 v[60:61], v[46:47], s[50:51]
	scratch_store_b128 off, v[16:19], off offset:760 ; 16-byte Folded Spill
	v_add_f64 v[16:17], v[82:83], v[80:81]
	v_mul_f64 v[80:81], v[12:13], s[18:19]
	v_mul_f64 v[82:83], v[14:15], s[8:9]
	v_add_f64 v[18:19], v[66:67], v[64:65]
	v_mul_f64 v[64:65], v[54:55], s[50:51]
	v_dual_mov_b32 v66, v168 :: v_dual_mov_b32 v67, v169
	v_add_f64 v[80:81], v[92:93], -v[80:81]
	v_add_f64 v[82:83], v[82:83], v[90:91]
	v_fma_f64 v[90:91], v[2:3], s[10:11], -v[252:253]
	v_fma_f64 v[94:95], v[4:5], s[2:3], -v[64:65]
	scratch_store_b128 off, v[16:19], off offset:808 ; 16-byte Folded Spill
	v_dual_mov_b32 v16, v198 :: v_dual_mov_b32 v17, v199
	v_dual_mov_b32 v18, v200 :: v_dual_mov_b32 v19, v201
	v_dual_mov_b32 v199, v147 :: v_dual_mov_b32 v196, v144
	v_dual_mov_b32 v198, v146 :: v_dual_mov_b32 v197, v145
	v_mul_f64 v[144:145], v[38:39], s[52:53]
	v_dual_mov_b32 v203, v151 :: v_dual_mov_b32 v200, v148
	v_mov_b32_e32 v201, v149
	v_dual_mov_b32 v93, v69 :: v_dual_mov_b32 v92, v68
	v_mov_b32_e32 v202, v150
	v_mul_f64 v[148:149], v[232:233], s[48:49]
	v_mov_b32_e32 v23, v177
	v_mul_f64 v[176:177], v[38:39], s[16:17]
	v_add_f64 v[72:73], v[80:81], v[72:73]
	v_add_f64 v[74:75], v[82:83], v[74:75]
	v_mul_f64 v[80:81], v[68:69], s[24:25]
	v_mul_f64 v[82:83], v[52:53], s[38:39]
	v_fma_f64 v[146:147], v[76:77], s[24:25], v[144:145]
	v_fma_f64 v[150:151], v[34:35], s[8:9], v[148:149]
	;; [unrolled: 1-line block ×3, first 2 shown]
	v_add_f64 v[72:73], v[84:85], v[72:73]
	v_add_f64 v[74:75], v[86:87], v[74:75]
	;; [unrolled: 1-line block ×3, first 2 shown]
	v_mul_f64 v[84:85], v[76:77], s[26:27]
	v_add_f64 v[82:83], v[122:123], -v[82:83]
	v_mul_f64 v[86:87], v[54:55], s[36:37]
	v_mul_f64 v[116:117], v[52:53], s[40:41]
	v_fma_f64 v[122:123], v[4:5], s[26:27], -v[120:121]
	v_add_f64 v[72:73], v[204:205], v[72:73]
	v_add_f64 v[74:75], v[206:207], v[74:75]
	;; [unrolled: 1-line block ×3, first 2 shown]
	v_mul_f64 v[0:1], v[28:29], s[42:43]
	v_add_f64 v[86:87], v[8:9], -v[86:87]
	v_dual_mov_b32 v8, v42 :: v_dual_mov_b32 v9, v43
	v_mul_f64 v[42:43], v[28:29], s[36:37]
	v_fma_f64 v[118:119], v[2:3], s[20:21], -v[116:117]
	s_delay_alu instid0(VALU_DEP_3) | instskip(SKIP_2) | instid1(VALU_DEP_2)
	v_fma_f64 v[134:135], v[8:9], s[10:11], -v[132:133]
	v_add_f64 v[72:73], v[208:209], v[72:73]
	v_add_f64 v[74:75], v[210:211], v[74:75]
	v_add_f64 v[72:73], v[212:213], v[72:73]
	s_delay_alu instid0(VALU_DEP_2) | instskip(SKIP_2) | instid1(VALU_DEP_4)
	v_add_f64 v[74:75], v[80:81], v[74:75]
	v_mul_f64 v[80:81], v[108:109], s[28:29]
	v_mul_f64 v[212:213], v[24:25], s[34:35]
	v_add_f64 v[72:73], v[82:83], v[72:73]
	s_delay_alu instid0(VALU_DEP_4) | instskip(NEXT) | instid1(VALU_DEP_4)
	v_add_f64 v[82:83], v[84:85], v[74:75]
	v_add_f64 v[80:81], v[80:81], v[6:7]
	v_mul_f64 v[84:85], v[70:71], s[40:41]
	s_delay_alu instid0(VALU_DEP_4) | instskip(SKIP_1) | instid1(VALU_DEP_4)
	v_add_f64 v[226:227], v[86:87], v[72:73]
	v_dual_mov_b32 v72, v182 :: v_dual_mov_b32 v73, v183
	v_add_f64 v[224:225], v[80:81], v[82:83]
	v_fma_f64 v[82:83], v[32:33], s[20:21], -v[240:241]
	v_fma_f64 v[86:87], v[14:15], s[20:21], v[84:85]
	v_dual_mov_b32 v74, v184 :: v_dual_mov_b32 v75, v185
	v_dual_mov_b32 v183, v107 :: v_dual_mov_b32 v182, v106
	;; [unrolled: 1-line block ×3, first 2 shown]
	v_mul_f64 v[104:105], v[36:37], s[48:49]
	v_add_f64 v[82:83], v[82:83], v[152:153]
	v_fma_f64 v[152:153], v[40:41], s[24:25], -v[212:213]
	v_add_f64 v[86:87], v[86:87], v[154:155]
	s_delay_alu instid0(VALU_DEP_4) | instskip(NEXT) | instid1(VALU_DEP_3)
	v_fma_f64 v[106:107], v[8:9], s[8:9], -v[104:105]
	v_add_f64 v[82:83], v[152:153], v[82:83]
	v_fma_f64 v[152:153], v[34:35], s[24:25], v[230:231]
	s_delay_alu instid0(VALU_DEP_1) | instskip(SKIP_2) | instid1(VALU_DEP_2)
	v_add_f64 v[86:87], v[152:153], v[86:87]
	v_fma_f64 v[152:153], v[50:51], s[28:29], -v[42:43]
	v_fma_f64 v[42:43], v[50:51], s[28:29], v[42:43]
	v_add_f64 v[82:83], v[152:153], v[82:83]
	v_fma_f64 v[152:153], v[168:169], s[28:29], v[228:229]
	s_delay_alu instid0(VALU_DEP_1) | instskip(SKIP_1) | instid1(VALU_DEP_1)
	v_add_f64 v[86:87], v[152:153], v[86:87]
	v_fma_f64 v[152:153], v[8:9], s[26:27], -v[234:235]
	v_add_f64 v[82:83], v[152:153], v[82:83]
	v_fma_f64 v[152:153], v[48:49], s[26:27], v[236:237]
	s_delay_alu instid0(VALU_DEP_1) | instskip(SKIP_1) | instid1(VALU_DEP_1)
	v_add_f64 v[86:87], v[152:153], v[86:87]
	v_fma_f64 v[152:153], v[88:89], s[22:23], -v[238:239]
	v_add_f64 v[82:83], v[152:153], v[82:83]
	v_fma_f64 v[152:153], v[68:69], s[22:23], v[254:255]
	s_delay_alu instid0(VALU_DEP_2) | instskip(SKIP_1) | instid1(VALU_DEP_3)
	v_add_f64 v[82:83], v[90:91], v[82:83]
	v_mul_f64 v[90:91], v[38:39], s[44:45]
	v_add_f64 v[86:87], v[152:153], v[86:87]
	s_delay_alu instid0(VALU_DEP_3) | instskip(NEXT) | instid1(VALU_DEP_3)
	v_add_f64 v[154:155], v[94:95], v[82:83]
	v_fma_f64 v[152:153], v[76:77], s[10:11], v[90:91]
	v_fma_f64 v[94:95], v[108:109], s[2:3], v[60:61]
	v_dual_mov_b32 v80, v164 :: v_dual_mov_b32 v81, v165
	v_dual_mov_b32 v82, v166 :: v_dual_mov_b32 v83, v167
	;; [unrolled: 1-line block ×6, first 2 shown]
	v_mul_f64 v[140:141], v[30:31], s[38:39]
	v_add_f64 v[86:87], v[152:153], v[86:87]
	s_delay_alu instid0(VALU_DEP_2) | instskip(NEXT) | instid1(VALU_DEP_2)
	v_fma_f64 v[142:143], v[68:69], s[26:27], v[140:141]
	v_add_f64 v[152:153], v[94:95], v[86:87]
	v_mul_f64 v[86:87], v[12:13], s[34:35]
	s_delay_alu instid0(VALU_DEP_1) | instskip(NEXT) | instid1(VALU_DEP_1)
	v_fma_f64 v[94:95], v[32:33], s[24:25], -v[86:87]
	v_add_f64 v[94:95], v[94:95], v[160:161]
	s_delay_alu instid0(VALU_DEP_1) | instskip(SKIP_2) | instid1(VALU_DEP_2)
	v_add_f64 v[94:95], v[102:103], v[94:95]
	v_mul_f64 v[102:103], v[78:79], s[56:57]
	v_fma_f64 v[78:79], v[50:51], s[22:23], -v[0:1]
	v_fma_f64 v[160:161], v[34:35], s[28:29], v[102:103]
	s_delay_alu instid0(VALU_DEP_2) | instskip(SKIP_1) | instid1(VALU_DEP_3)
	v_add_f64 v[78:79], v[78:79], v[94:95]
	v_mul_f64 v[94:95], v[10:11], s[42:43]
	v_add_f64 v[98:99], v[160:161], v[98:99]
	s_delay_alu instid0(VALU_DEP_3) | instskip(NEXT) | instid1(VALU_DEP_3)
	v_add_f64 v[78:79], v[106:107], v[78:79]
	v_fma_f64 v[160:161], v[168:169], s[22:23], v[94:95]
	v_mul_f64 v[106:107], v[26:27], s[48:49]
	s_delay_alu instid0(VALU_DEP_3) | instskip(NEXT) | instid1(VALU_DEP_3)
	v_add_f64 v[78:79], v[114:115], v[78:79]
	v_add_f64 v[98:99], v[160:161], v[98:99]
	s_delay_alu instid0(VALU_DEP_3) | instskip(SKIP_1) | instid1(VALU_DEP_4)
	v_fma_f64 v[160:161], v[48:49], s[8:9], v[106:107]
	v_mul_f64 v[114:115], v[30:31], s[16:17]
	v_add_f64 v[78:79], v[118:119], v[78:79]
	v_mul_f64 v[118:119], v[38:39], s[40:41]
	s_delay_alu instid0(VALU_DEP_4) | instskip(NEXT) | instid1(VALU_DEP_4)
	v_add_f64 v[98:99], v[160:161], v[98:99]
	v_fma_f64 v[160:161], v[68:69], s[2:3], v[114:115]
	v_dual_mov_b32 v68, v88 :: v_dual_mov_b32 v69, v89
	v_mul_f64 v[38:39], v[38:39], s[36:37]
	v_add_f64 v[162:163], v[122:123], v[78:79]
	v_mul_f64 v[78:79], v[46:47], s[38:39]
	v_add_f64 v[98:99], v[160:161], v[98:99]
	v_fma_f64 v[160:161], v[76:77], s[20:21], v[118:119]
	s_delay_alu instid0(VALU_DEP_3) | instskip(NEXT) | instid1(VALU_DEP_2)
	v_fma_f64 v[122:123], v[108:109], s[26:27], v[78:79]
	v_add_f64 v[98:99], v[160:161], v[98:99]
	s_delay_alu instid0(VALU_DEP_1) | instskip(SKIP_1) | instid1(VALU_DEP_1)
	v_add_f64 v[160:161], v[122:123], v[98:99]
	v_mul_f64 v[98:99], v[12:13], s[36:37]
	v_fma_f64 v[122:123], v[32:33], s[28:29], -v[98:99]
	s_delay_alu instid0(VALU_DEP_1) | instskip(SKIP_2) | instid1(VALU_DEP_2)
	v_add_f64 v[122:123], v[122:123], v[250:251]
	v_mul_f64 v[250:251], v[70:71], s[36:37]
	v_mul_f64 v[70:71], v[44:45], s[38:39]
	v_fma_f64 v[204:205], v[14:15], s[28:29], v[250:251]
	s_delay_alu instid0(VALU_DEP_1) | instskip(SKIP_1) | instid1(VALU_DEP_2)
	v_add_f64 v[204:205], v[204:205], v[218:219]
	v_mul_f64 v[218:219], v[24:25], s[42:43]
	v_add_f64 v[126:127], v[126:127], v[204:205]
	s_delay_alu instid0(VALU_DEP_2) | instskip(NEXT) | instid1(VALU_DEP_1)
	v_fma_f64 v[206:207], v[40:41], s[22:23], -v[218:219]
	v_add_f64 v[122:123], v[206:207], v[122:123]
	s_delay_alu instid0(VALU_DEP_1) | instskip(SKIP_1) | instid1(VALU_DEP_2)
	v_add_f64 v[122:123], v[130:131], v[122:123]
	v_mul_f64 v[130:131], v[10:11], s[50:51]
	v_add_f64 v[122:123], v[134:135], v[122:123]
	s_delay_alu instid0(VALU_DEP_2) | instskip(SKIP_3) | instid1(VALU_DEP_4)
	v_fma_f64 v[204:205], v[168:169], s[2:3], v[130:131]
	v_mul_f64 v[134:135], v[26:27], s[30:31]
	v_mul_f64 v[168:169], v[26:27], s[36:37]
	;; [unrolled: 1-line block ×3, first 2 shown]
	v_add_f64 v[126:127], v[204:205], v[126:127]
	s_delay_alu instid0(VALU_DEP_4) | instskip(NEXT) | instid1(VALU_DEP_1)
	v_fma_f64 v[204:205], v[48:49], s[10:11], v[134:135]
	v_add_f64 v[126:127], v[204:205], v[126:127]
	v_fma_f64 v[204:205], v[88:89], s[26:27], -v[70:71]
	v_dual_mov_b32 v89, v5 :: v_dual_mov_b32 v88, v4
	s_delay_alu instid0(VALU_DEP_3) | instskip(SKIP_1) | instid1(VALU_DEP_4)
	v_add_f64 v[126:127], v[142:143], v[126:127]
	v_mul_f64 v[142:143], v[52:53], s[52:53]
	v_add_f64 v[122:123], v[204:205], v[122:123]
	s_delay_alu instid0(VALU_DEP_3) | instskip(NEXT) | instid1(VALU_DEP_3)
	v_add_f64 v[126:127], v[146:147], v[126:127]
	v_fma_f64 v[204:205], v[2:3], s[24:25], -v[142:143]
	v_mul_f64 v[146:147], v[54:55], s[48:49]
	s_delay_alu instid0(VALU_DEP_2) | instskip(NEXT) | instid1(VALU_DEP_2)
	v_add_f64 v[122:123], v[204:205], v[122:123]
	v_fma_f64 v[204:205], v[4:5], s[8:9], -v[146:147]
	v_dual_mov_b32 v4, v186 :: v_dual_mov_b32 v5, v187
	v_dual_mov_b32 v6, v188 :: v_dual_mov_b32 v7, v189
	;; [unrolled: 1-line block ×4, first 2 shown]
	v_mul_f64 v[156:157], v[28:29], s[30:31]
	v_dual_mov_b32 v191, v173 :: v_dual_mov_b32 v188, v170
	v_dual_mov_b32 v190, v172 :: v_dual_mov_b32 v189, v171
	v_fma_f64 v[170:171], v[48:49], s[28:29], v[168:169]
	v_mul_f64 v[172:173], v[30:31], s[46:47]
	v_mul_f64 v[28:29], v[28:29], s[38:39]
	;; [unrolled: 1-line block ×3, first 2 shown]
	v_add_f64 v[206:207], v[204:205], v[122:123]
	v_mul_f64 v[122:123], v[46:47], s[48:49]
	v_fma_f64 v[158:159], v[50:51], s[10:11], -v[156:157]
	v_fma_f64 v[174:175], v[92:93], s[20:21], v[172:173]
	s_delay_alu instid0(VALU_DEP_3) | instskip(NEXT) | instid1(VALU_DEP_1)
	v_fma_f64 v[204:205], v[108:109], s[8:9], v[122:123]
	v_add_f64 v[204:205], v[204:205], v[126:127]
	v_mul_f64 v[126:127], v[12:13], s[54:55]
	s_delay_alu instid0(VALU_DEP_1) | instskip(NEXT) | instid1(VALU_DEP_1)
	v_fma_f64 v[208:209], v[32:33], s[26:27], -v[126:127]
	v_add_f64 v[208:209], v[208:209], v[246:247]
	v_mul_f64 v[246:247], v[58:59], s[54:55]
	s_delay_alu instid0(VALU_DEP_1) | instskip(SKIP_2) | instid1(VALU_DEP_3)
	v_fma_f64 v[210:211], v[14:15], s[26:27], v[246:247]
	v_mul_f64 v[14:15], v[36:37], s[36:37]
	v_mul_f64 v[36:37], v[36:37], s[46:47]
	v_add_f64 v[210:211], v[210:211], v[216:217]
	v_mul_f64 v[216:217], v[24:25], s[48:49]
	v_mul_f64 v[24:25], v[24:25], s[16:17]
	s_delay_alu instid0(VALU_DEP_3) | instskip(NEXT) | instid1(VALU_DEP_3)
	v_add_f64 v[150:151], v[150:151], v[210:211]
	v_fma_f64 v[56:57], v[40:41], s[8:9], -v[216:217]
	s_delay_alu instid0(VALU_DEP_1) | instskip(NEXT) | instid1(VALU_DEP_1)
	v_add_f64 v[56:57], v[56:57], v[208:209]
	v_add_f64 v[56:57], v[158:159], v[56:57]
	v_mul_f64 v[158:159], v[10:11], s[30:31]
	s_delay_alu instid0(VALU_DEP_1) | instskip(NEXT) | instid1(VALU_DEP_1)
	v_fma_f64 v[208:209], v[66:67], s[10:11], v[158:159]
	v_add_f64 v[150:151], v[208:209], v[150:151]
	v_fma_f64 v[208:209], v[8:9], s[28:29], -v[14:15]
	v_fma_f64 v[14:15], v[8:9], s[28:29], v[14:15]
	s_delay_alu instid0(VALU_DEP_3) | instskip(SKIP_1) | instid1(VALU_DEP_4)
	v_add_f64 v[150:151], v[170:171], v[150:151]
	v_mul_f64 v[170:171], v[44:45], s[46:47]
	v_add_f64 v[56:57], v[208:209], v[56:57]
	v_mul_f64 v[44:45], v[44:45], s[18:19]
	s_delay_alu instid0(VALU_DEP_4) | instskip(NEXT) | instid1(VALU_DEP_4)
	v_add_f64 v[150:151], v[174:175], v[150:151]
	v_fma_f64 v[208:209], v[68:69], s[20:21], -v[170:171]
	v_mul_f64 v[174:175], v[52:53], s[16:17]
	v_mul_f64 v[52:53], v[52:53], s[36:37]
	s_delay_alu instid0(VALU_DEP_4) | instskip(NEXT) | instid1(VALU_DEP_4)
	v_add_f64 v[150:151], v[178:179], v[150:151]
	v_add_f64 v[56:57], v[208:209], v[56:57]
	s_delay_alu instid0(VALU_DEP_4) | instskip(SKIP_2) | instid1(VALU_DEP_3)
	v_fma_f64 v[208:209], v[2:3], s[2:3], -v[174:175]
	v_mul_f64 v[178:179], v[54:55], s[34:35]
	v_mul_f64 v[54:55], v[54:55], s[44:45]
	v_add_f64 v[56:57], v[208:209], v[56:57]
	s_delay_alu instid0(VALU_DEP_3) | instskip(NEXT) | instid1(VALU_DEP_1)
	v_fma_f64 v[208:209], v[88:89], s[24:25], -v[178:179]
	v_add_f64 v[210:211], v[208:209], v[56:57]
	v_mul_f64 v[56:57], v[46:47], s[34:35]
	v_mul_f64 v[46:47], v[46:47], s[44:45]
	s_delay_alu instid0(VALU_DEP_2) | instskip(NEXT) | instid1(VALU_DEP_1)
	v_fma_f64 v[208:209], v[108:109], s[24:25], v[56:57]
	v_add_f64 v[208:209], v[208:209], v[150:151]
	v_mul_f64 v[150:151], v[12:13], s[42:43]
	s_delay_alu instid0(VALU_DEP_1) | instskip(NEXT) | instid1(VALU_DEP_1)
	v_fma_f64 v[12:13], v[32:33], s[22:23], -v[150:151]
	v_add_f64 v[12:13], v[12:13], v[242:243]
	v_mul_f64 v[242:243], v[58:59], s[42:43]
	s_delay_alu instid0(VALU_DEP_1) | instskip(NEXT) | instid1(VALU_DEP_1)
	v_fma_f64 v[58:59], v[62:63], s[22:23], v[242:243]
	v_add_f64 v[58:59], v[58:59], v[214:215]
	v_fma_f64 v[214:215], v[40:41], s[2:3], -v[24:25]
	v_fma_f64 v[24:25], v[40:41], s[2:3], v[24:25]
	s_delay_alu instid0(VALU_DEP_2) | instskip(SKIP_1) | instid1(VALU_DEP_1)
	v_add_f64 v[12:13], v[214:215], v[12:13]
	v_mul_f64 v[214:215], v[232:233], s[16:17]
	v_fma_f64 v[232:233], v[34:35], s[2:3], v[214:215]
	s_delay_alu instid0(VALU_DEP_1) | instskip(SKIP_2) | instid1(VALU_DEP_2)
	v_add_f64 v[58:59], v[232:233], v[58:59]
	v_fma_f64 v[232:233], v[50:51], s[26:27], -v[28:29]
	v_fma_f64 v[28:29], v[50:51], s[26:27], v[28:29]
	v_add_f64 v[12:13], v[232:233], v[12:13]
	v_mul_f64 v[232:233], v[10:11], s[38:39]
	s_delay_alu instid0(VALU_DEP_1) | instskip(NEXT) | instid1(VALU_DEP_1)
	v_fma_f64 v[10:11], v[66:67], s[26:27], v[232:233]
	v_add_f64 v[10:11], v[10:11], v[58:59]
	v_fma_f64 v[58:59], v[8:9], s[20:21], -v[36:37]
	v_fma_f64 v[36:37], v[8:9], s[20:21], v[36:37]
	s_delay_alu instid0(VALU_DEP_2) | instskip(SKIP_2) | instid1(VALU_DEP_2)
	v_add_f64 v[12:13], v[58:59], v[12:13]
	v_fma_f64 v[58:59], v[48:49], s[20:21], v[26:27]
	v_fma_f64 v[26:27], v[48:49], s[20:21], -v[26:27]
	v_add_f64 v[10:11], v[58:59], v[10:11]
	v_fma_f64 v[58:59], v[68:69], s[8:9], -v[44:45]
	s_delay_alu instid0(VALU_DEP_1) | instskip(SKIP_1) | instid1(VALU_DEP_1)
	v_add_f64 v[12:13], v[58:59], v[12:13]
	v_fma_f64 v[58:59], v[92:93], s[8:9], v[30:31]
	v_add_f64 v[10:11], v[58:59], v[10:11]
	v_fma_f64 v[58:59], v[2:3], s[28:29], -v[52:53]
	s_delay_alu instid0(VALU_DEP_1) | instskip(SKIP_1) | instid1(VALU_DEP_1)
	v_add_f64 v[12:13], v[58:59], v[12:13]
	v_fma_f64 v[58:59], v[76:77], s[28:29], v[38:39]
	;; [unrolled: 5-line block ×3, first 2 shown]
	v_add_f64 v[10:11], v[58:59], v[10:11]
	v_fma_f64 v[58:59], v[32:33], s[22:23], v[150:151]
	v_fma_f64 v[150:151], v[62:63], s[22:23], -v[242:243]
	scratch_load_b64 v[242:243], off, off offset:824 ; 8-byte Folded Reload
	v_add_f64 v[58:59], v[58:59], v[248:249]
	s_delay_alu instid0(VALU_DEP_1) | instskip(SKIP_1) | instid1(VALU_DEP_2)
	v_add_f64 v[24:25], v[24:25], v[58:59]
	v_fma_f64 v[58:59], v[34:35], s[2:3], -v[214:215]
	v_add_f64 v[24:25], v[28:29], v[24:25]
	v_fma_f64 v[28:29], v[66:67], s[26:27], -v[232:233]
	s_delay_alu instid0(VALU_DEP_2) | instskip(SKIP_3) | instid1(VALU_DEP_1)
	v_add_f64 v[24:25], v[36:37], v[24:25]
	scratch_load_b64 v[36:37], off, off offset:792 ; 8-byte Folded Reload
	s_waitcnt vmcnt(1)
	v_add_f64 v[150:151], v[150:151], v[242:243]
	v_add_f64 v[58:59], v[58:59], v[150:151]
	s_delay_alu instid0(VALU_DEP_1) | instskip(NEXT) | instid1(VALU_DEP_1)
	v_add_f64 v[28:29], v[28:29], v[58:59]
	v_add_f64 v[26:27], v[26:27], v[28:29]
	v_fma_f64 v[28:29], v[68:69], s[8:9], v[44:45]
	v_fma_f64 v[44:45], v[108:109], s[8:9], -v[122:123]
	s_delay_alu instid0(VALU_DEP_2) | instskip(SKIP_3) | instid1(VALU_DEP_3)
	v_add_f64 v[24:25], v[28:29], v[24:25]
	v_fma_f64 v[28:29], v[92:93], s[8:9], -v[30:31]
	v_fma_f64 v[30:31], v[108:109], s[10:11], -v[46:47]
	v_fma_f64 v[46:47], v[40:41], s[28:29], v[100:101]
	v_add_f64 v[26:27], v[28:29], v[26:27]
	v_fma_f64 v[28:29], v[2:3], s[28:29], v[52:53]
	v_fma_f64 v[52:53], v[108:109], s[26:27], -v[78:79]
	s_delay_alu instid0(VALU_DEP_2) | instskip(SKIP_2) | instid1(VALU_DEP_2)
	v_add_f64 v[24:25], v[28:29], v[24:25]
	v_fma_f64 v[28:29], v[76:77], s[28:29], -v[38:39]
	v_fma_f64 v[38:39], v[40:41], s[22:23], v[218:219]
	v_add_f64 v[28:29], v[28:29], v[26:27]
	v_fma_f64 v[26:27], v[88:89], s[10:11], v[54:55]
	s_delay_alu instid0(VALU_DEP_1) | instskip(NEXT) | instid1(VALU_DEP_3)
	v_add_f64 v[26:27], v[26:27], v[24:25]
	v_add_f64 v[24:25], v[30:31], v[28:29]
	scratch_load_b64 v[30:31], off, off offset:800 ; 8-byte Folded Reload
	v_fma_f64 v[28:29], v[32:33], s[26:27], v[126:127]
	s_waitcnt vmcnt(0)
	s_delay_alu instid0(VALU_DEP_1) | instskip(SKIP_1) | instid1(VALU_DEP_1)
	v_add_f64 v[28:29], v[28:29], v[30:31]
	v_fma_f64 v[30:31], v[62:63], s[26:27], -v[246:247]
	v_add_f64 v[30:31], v[30:31], v[36:37]
	v_fma_f64 v[36:37], v[40:41], s[8:9], v[216:217]
	s_delay_alu instid0(VALU_DEP_1) | instskip(SKIP_3) | instid1(VALU_DEP_3)
	v_add_f64 v[28:29], v[36:37], v[28:29]
	v_fma_f64 v[36:37], v[34:35], s[8:9], -v[148:149]
	v_dual_mov_b32 v148, v200 :: v_dual_mov_b32 v151, v203
	v_dual_mov_b32 v149, v201 :: v_dual_mov_b32 v150, v202
	v_add_f64 v[30:31], v[36:37], v[30:31]
	v_fma_f64 v[36:37], v[50:51], s[10:11], v[156:157]
	s_delay_alu instid0(VALU_DEP_1) | instskip(SKIP_3) | instid1(VALU_DEP_4)
	v_add_f64 v[28:29], v[36:37], v[28:29]
	v_fma_f64 v[36:37], v[66:67], s[10:11], -v[158:159]
	v_dual_mov_b32 v156, v184 :: v_dual_mov_b32 v159, v187
	v_dual_mov_b32 v157, v185 :: v_dual_mov_b32 v158, v186
	v_add_f64 v[14:15], v[14:15], v[28:29]
	s_delay_alu instid0(VALU_DEP_4) | instskip(SKIP_2) | instid1(VALU_DEP_2)
	v_add_f64 v[30:31], v[36:37], v[30:31]
	v_fma_f64 v[28:29], v[48:49], s[28:29], -v[168:169]
	v_fma_f64 v[36:37], v[108:109], s[24:25], -v[56:57]
	v_add_f64 v[28:29], v[28:29], v[30:31]
	v_fma_f64 v[30:31], v[68:69], s[20:21], v[170:171]
	s_delay_alu instid0(VALU_DEP_1)
	v_add_f64 v[14:15], v[30:31], v[14:15]
	v_fma_f64 v[30:31], v[92:93], s[20:21], -v[172:173]
	v_dual_mov_b32 v170, v188 :: v_dual_mov_b32 v171, v189
	v_dual_mov_b32 v172, v190 :: v_dual_mov_b32 v173, v191
	;; [unrolled: 1-line block ×4, first 2 shown]
	scratch_load_b64 v[4:5], off, off offset:784 ; 8-byte Folded Reload
	v_add_f64 v[28:29], v[30:31], v[28:29]
	v_fma_f64 v[30:31], v[2:3], s[2:3], v[174:175]
	s_delay_alu instid0(VALU_DEP_1) | instskip(SKIP_3) | instid1(VALU_DEP_3)
	v_add_f64 v[14:15], v[30:31], v[14:15]
	v_fma_f64 v[30:31], v[76:77], s[2:3], -v[176:177]
	v_dual_mov_b32 v177, v23 :: v_dual_mov_b32 v174, v20
	v_dual_mov_b32 v175, v21 :: v_dual_mov_b32 v176, v22
	v_add_f64 v[28:29], v[30:31], v[28:29]
	v_fma_f64 v[30:31], v[88:89], s[24:25], v[178:179]
	s_delay_alu instid0(VALU_DEP_2) | instskip(NEXT) | instid1(VALU_DEP_2)
	v_add_f64 v[28:29], v[36:37], v[28:29]
	v_add_f64 v[30:31], v[30:31], v[14:15]
	v_fma_f64 v[14:15], v[32:33], s[28:29], v[98:99]
	v_fma_f64 v[36:37], v[62:63], s[28:29], -v[250:251]
	s_waitcnt vmcnt(0)
	s_delay_alu instid0(VALU_DEP_2)
	v_add_f64 v[14:15], v[14:15], v[4:5]
	scratch_load_b64 v[4:5], off, off offset:776 ; 8-byte Folded Reload
	v_add_f64 v[14:15], v[38:39], v[14:15]
	v_fma_f64 v[38:39], v[34:35], s[22:23], -v[124:125]
	s_waitcnt vmcnt(0)
	v_add_f64 v[36:37], v[36:37], v[4:5]
	scratch_load_b64 v[4:5], off, off offset:752 ; 8-byte Folded Reload
	v_add_f64 v[36:37], v[38:39], v[36:37]
	v_fma_f64 v[38:39], v[50:51], s[2:3], v[128:129]
	s_delay_alu instid0(VALU_DEP_1) | instskip(SKIP_1) | instid1(VALU_DEP_1)
	v_add_f64 v[14:15], v[38:39], v[14:15]
	v_fma_f64 v[38:39], v[66:67], s[2:3], -v[130:131]
	v_add_f64 v[36:37], v[38:39], v[36:37]
	v_fma_f64 v[38:39], v[8:9], s[10:11], v[132:133]
	s_delay_alu instid0(VALU_DEP_1) | instskip(SKIP_1) | instid1(VALU_DEP_1)
	v_add_f64 v[14:15], v[38:39], v[14:15]
	v_fma_f64 v[38:39], v[48:49], s[10:11], -v[134:135]
	;; [unrolled: 5-line block ×3, first 2 shown]
	v_add_f64 v[36:37], v[38:39], v[36:37]
	v_fma_f64 v[38:39], v[2:3], s[24:25], v[142:143]
	v_dual_mov_b32 v140, v192 :: v_dual_mov_b32 v141, v193
	v_dual_mov_b32 v142, v194 :: v_dual_mov_b32 v143, v195
	;; [unrolled: 1-line block ×6, first 2 shown]
	scratch_load_b128 v[80:83], off, off offset:648 ; 16-byte Folded Reload
	v_add_f64 v[14:15], v[38:39], v[14:15]
	v_fma_f64 v[38:39], v[76:77], s[24:25], -v[144:145]
	s_delay_alu instid0(VALU_DEP_1)
	v_add_f64 v[36:37], v[38:39], v[36:37]
	v_fma_f64 v[38:39], v[88:89], s[8:9], v[146:147]
	v_dual_mov_b32 v144, v196 :: v_dual_mov_b32 v145, v197
	v_dual_mov_b32 v146, v198 :: v_dual_mov_b32 v147, v199
	;; [unrolled: 1-line block ×6, first 2 shown]
	v_add_f64 v[36:37], v[44:45], v[36:37]
	v_add_f64 v[38:39], v[38:39], v[14:15]
	v_fma_f64 v[14:15], v[32:33], s[24:25], v[86:87]
	v_fma_f64 v[44:45], v[62:63], s[24:25], -v[96:97]
	s_waitcnt vmcnt(1)
	s_delay_alu instid0(VALU_DEP_2)
	v_add_f64 v[14:15], v[14:15], v[4:5]
	scratch_load_b64 v[4:5], off, off offset:744 ; 8-byte Folded Reload
	v_add_f64 v[14:15], v[46:47], v[14:15]
	v_fma_f64 v[46:47], v[34:35], s[28:29], -v[102:103]
	s_waitcnt vmcnt(0)
	v_add_f64 v[44:45], v[44:45], v[4:5]
	scratch_load_b64 v[4:5], off, off offset:720 ; 8-byte Folded Reload
	v_add_f64 v[44:45], v[46:47], v[44:45]
	v_fma_f64 v[46:47], v[50:51], s[22:23], v[0:1]
	v_dual_mov_b32 v0, v34 :: v_dual_mov_b32 v1, v35
	v_fma_f64 v[34:35], v[40:41], s[24:25], v[212:213]
	s_delay_alu instid0(VALU_DEP_2) | instskip(SKIP_3) | instid1(VALU_DEP_1)
	v_fma_f64 v[40:41], v[0:1], s[24:25], -v[230:231]
	scratch_load_b64 v[0:1], off, off offset:712 ; 8-byte Folded Reload
	v_add_f64 v[14:15], v[46:47], v[14:15]
	v_fma_f64 v[46:47], v[66:67], s[22:23], -v[94:95]
	v_add_f64 v[44:45], v[46:47], v[44:45]
	v_fma_f64 v[46:47], v[8:9], s[8:9], v[104:105]
	s_delay_alu instid0(VALU_DEP_1)
	v_add_f64 v[14:15], v[46:47], v[14:15]
	v_fma_f64 v[46:47], v[48:49], s[8:9], -v[106:107]
	v_dual_mov_b32 v104, v180 :: v_dual_mov_b32 v105, v181
	v_dual_mov_b32 v106, v182 :: v_dual_mov_b32 v107, v183
	;; [unrolled: 1-line block ×3, first 2 shown]
	v_mov_b32_e32 v179, v137
	v_dual_mov_b32 v185, v75 :: v_dual_mov_b32 v182, v72
	v_dual_mov_b32 v184, v74 :: v_dual_mov_b32 v183, v73
	v_mov_b32_e32 v180, v138
	v_add_f64 v[44:45], v[46:47], v[44:45]
	v_fma_f64 v[46:47], v[68:69], s[2:3], v[111:112]
	v_mov_b32_e32 v112, v245
	s_delay_alu instid0(VALU_DEP_2) | instskip(SKIP_1) | instid1(VALU_DEP_1)
	v_add_f64 v[14:15], v[46:47], v[14:15]
	v_fma_f64 v[46:47], v[92:93], s[2:3], -v[114:115]
	v_add_f64 v[44:45], v[46:47], v[44:45]
	v_fma_f64 v[46:47], v[2:3], s[20:21], v[116:117]
	s_delay_alu instid0(VALU_DEP_1) | instskip(SKIP_1) | instid1(VALU_DEP_1)
	v_add_f64 v[14:15], v[46:47], v[14:15]
	v_fma_f64 v[46:47], v[76:77], s[20:21], -v[118:119]
	v_add_f64 v[44:45], v[46:47], v[44:45]
	v_fma_f64 v[46:47], v[88:89], s[26:27], v[120:121]
	s_delay_alu instid0(VALU_DEP_2) | instskip(NEXT) | instid1(VALU_DEP_2)
	v_add_f64 v[44:45], v[52:53], v[44:45]
	v_add_f64 v[46:47], v[46:47], v[14:15]
	v_fma_f64 v[14:15], v[32:33], s[20:21], v[240:241]
	v_fma_f64 v[32:33], v[62:63], s[20:21], -v[84:85]
	scratch_load_b128 v[84:87], off, off offset:664 ; 16-byte Folded Reload
	s_waitcnt vmcnt(2)
	v_add_f64 v[14:15], v[14:15], v[4:5]
	s_waitcnt vmcnt(1)
	v_add_f64 v[32:33], v[32:33], v[0:1]
	v_fma_f64 v[0:1], v[68:69], s[22:23], v[238:239]
	v_fma_f64 v[4:5], v[2:3], s[10:11], v[252:253]
	v_fma_f64 v[2:3], v[76:77], s[10:11], -v[90:91]
	v_add_f64 v[14:15], v[34:35], v[14:15]
	v_fma_f64 v[34:35], v[66:67], s[28:29], -v[228:229]
	v_add_f64 v[32:33], v[40:41], v[32:33]
	v_fma_f64 v[40:41], v[8:9], s[26:27], v[234:235]
	v_fma_f64 v[8:9], v[88:89], s[2:3], v[64:65]
	v_add_f64 v[14:15], v[42:43], v[14:15]
	v_fma_f64 v[42:43], v[48:49], s[26:27], -v[236:237]
	v_add_f64 v[32:33], v[34:35], v[32:33]
	v_fma_f64 v[34:35], v[92:93], s[22:23], -v[254:255]
	s_delay_alu instid0(VALU_DEP_4) | instskip(NEXT) | instid1(VALU_DEP_3)
	v_add_f64 v[14:15], v[40:41], v[14:15]
	v_add_f64 v[32:33], v[42:43], v[32:33]
	s_delay_alu instid0(VALU_DEP_2) | instskip(NEXT) | instid1(VALU_DEP_2)
	v_add_f64 v[0:1], v[0:1], v[14:15]
	v_add_f64 v[14:15], v[34:35], v[32:33]
	s_delay_alu instid0(VALU_DEP_2) | instskip(SKIP_1) | instid1(VALU_DEP_3)
	v_add_f64 v[0:1], v[4:5], v[0:1]
	v_fma_f64 v[4:5], v[108:109], s[2:3], -v[60:61]
	v_add_f64 v[6:7], v[2:3], v[14:15]
	s_delay_alu instid0(VALU_DEP_3) | instskip(NEXT) | instid1(VALU_DEP_2)
	v_add_f64 v[2:3], v[8:9], v[0:1]
	v_add_f64 v[0:1], v[4:5], v[6:7]
	s_clause 0x1
	scratch_load_b128 v[5:8], off, off offset:680
	scratch_load_b32 v4, off, off offset:8
	s_waitcnt vmcnt(0)
	v_mul_lo_u16 v4, v4, 17
	v_mov_b32_e32 v111, v113
	s_delay_alu instid0(VALU_DEP_2) | instskip(NEXT) | instid1(VALU_DEP_1)
	v_dual_mov_b32 v113, v244 :: v_dual_and_b32 v4, 0xffff, v4
	v_lshlrev_b32_e32 v4, 4, v4
	ds_store_b128 v4, v[5:8]
	ds_store_b128 v4, v[224:227] offset:16
	ds_store_b128 v4, v[152:155] offset:32
	;; [unrolled: 1-line block ×6, first 2 shown]
	scratch_load_b128 v[5:8], off, off offset:808 ; 16-byte Folded Reload
	s_waitcnt vmcnt(0)
	ds_store_b128 v4, v[5:8] offset:112
	scratch_load_b128 v[5:8], off, off offset:728 ; 16-byte Folded Reload
	s_waitcnt vmcnt(0)
	ds_store_b128 v4, v[5:8] offset:128
	;; [unrolled: 3-line block ×4, first 2 shown]
	ds_store_b128 v4, v[24:27] offset:176
	ds_store_b128 v4, v[28:31] offset:192
	;; [unrolled: 1-line block ×6, first 2 shown]
.LBB0_17:
	s_or_b32 exec_lo, exec_lo, s1
	s_waitcnt lgkmcnt(0)
	s_waitcnt_vscnt null, 0x0
	s_barrier
	buffer_gl0_inv
	ds_load_b128 v[0:3], v110 offset:15232
	ds_load_b128 v[4:7], v110 offset:17136
	scratch_load_b128 v[10:13], off, off offset:44 ; 16-byte Folded Reload
	s_waitcnt vmcnt(0) lgkmcnt(1)
	v_mul_f64 v[8:9], v[12:13], v[2:3]
	s_delay_alu instid0(VALU_DEP_1)
	v_fma_f64 v[8:9], v[10:11], v[0:1], v[8:9]
	v_mul_f64 v[0:1], v[12:13], v[0:1]
	scratch_load_b128 v[12:15], off, off offset:28 ; 16-byte Folded Reload
	v_fma_f64 v[10:11], v[10:11], v[2:3], -v[0:1]
	s_waitcnt vmcnt(0) lgkmcnt(0)
	v_mul_f64 v[0:1], v[14:15], v[6:7]
	s_delay_alu instid0(VALU_DEP_1) | instskip(SKIP_1) | instid1(VALU_DEP_1)
	v_fma_f64 v[36:37], v[12:13], v[4:5], v[0:1]
	v_mul_f64 v[0:1], v[14:15], v[4:5]
	v_fma_f64 v[38:39], v[12:13], v[6:7], -v[0:1]
	ds_load_b128 v[0:3], v110 offset:19040
	ds_load_b128 v[4:7], v110 offset:20944
	scratch_load_b128 v[14:17], off, off offset:140 ; 16-byte Folded Reload
	s_waitcnt vmcnt(0) lgkmcnt(1)
	v_mul_f64 v[12:13], v[16:17], v[2:3]
	s_delay_alu instid0(VALU_DEP_1) | instskip(SKIP_1) | instid1(VALU_DEP_1)
	v_fma_f64 v[40:41], v[14:15], v[0:1], v[12:13]
	v_mul_f64 v[0:1], v[16:17], v[0:1]
	v_fma_f64 v[42:43], v[14:15], v[2:3], -v[0:1]
	scratch_load_b128 v[12:15], off, off offset:124 ; 16-byte Folded Reload
	s_waitcnt vmcnt(0) lgkmcnt(0)
	v_mul_f64 v[0:1], v[14:15], v[6:7]
	s_delay_alu instid0(VALU_DEP_1) | instskip(SKIP_1) | instid1(VALU_DEP_1)
	v_fma_f64 v[44:45], v[12:13], v[4:5], v[0:1]
	v_mul_f64 v[0:1], v[14:15], v[4:5]
	v_fma_f64 v[46:47], v[12:13], v[6:7], -v[0:1]
	ds_load_b128 v[0:3], v110 offset:22848
	ds_load_b128 v[4:7], v110 offset:24752
	scratch_load_b128 v[14:17], off, off offset:108 ; 16-byte Folded Reload
	s_waitcnt vmcnt(0) lgkmcnt(1)
	v_mul_f64 v[12:13], v[16:17], v[2:3]
	s_delay_alu instid0(VALU_DEP_1) | instskip(SKIP_1) | instid1(VALU_DEP_1)
	v_fma_f64 v[48:49], v[14:15], v[0:1], v[12:13]
	v_mul_f64 v[0:1], v[16:17], v[0:1]
	v_fma_f64 v[50:51], v[14:15], v[2:3], -v[0:1]
	scratch_load_b128 v[12:15], off, off offset:92 ; 16-byte Folded Reload
	;; [unrolled: 16-line block ×3, first 2 shown]
	s_waitcnt vmcnt(0) lgkmcnt(0)
	v_mul_f64 v[0:1], v[14:15], v[6:7]
	s_delay_alu instid0(VALU_DEP_1) | instskip(SKIP_1) | instid1(VALU_DEP_1)
	v_fma_f64 v[60:61], v[12:13], v[4:5], v[0:1]
	v_mul_f64 v[0:1], v[14:15], v[4:5]
	v_fma_f64 v[62:63], v[12:13], v[6:7], -v[0:1]
	ds_load_b128 v[0:3], v110
	ds_load_b128 v[4:7], v110 offset:1904
	ds_load_b128 v[12:15], v110 offset:3808
	;; [unrolled: 1-line block ×7, first 2 shown]
	s_waitcnt lgkmcnt(0)
	s_barrier
	buffer_gl0_inv
	scratch_load_b32 v64, off, off offset:316 ; 4-byte Folded Reload
	v_add_f64 v[8:9], v[0:1], -v[8:9]
	v_add_f64 v[10:11], v[2:3], -v[10:11]
	s_delay_alu instid0(VALU_DEP_2) | instskip(NEXT) | instid1(VALU_DEP_2)
	v_fma_f64 v[0:1], v[0:1], 2.0, -v[8:9]
	v_fma_f64 v[2:3], v[2:3], 2.0, -v[10:11]
	s_waitcnt vmcnt(0)
	ds_store_b128 v64, v[8:11] offset:272
	ds_store_b128 v64, v[0:3]
	scratch_load_b32 v8, off, off offset:328 ; 4-byte Folded Reload
	v_add_f64 v[0:1], v[4:5], -v[36:37]
	v_add_f64 v[2:3], v[6:7], -v[38:39]
	;; [unrolled: 1-line block ×3, first 2 shown]
	s_delay_alu instid0(VALU_DEP_3) | instskip(NEXT) | instid1(VALU_DEP_3)
	v_fma_f64 v[4:5], v[4:5], 2.0, -v[0:1]
	v_fma_f64 v[6:7], v[6:7], 2.0, -v[2:3]
	s_waitcnt vmcnt(0)
	ds_store_b128 v8, v[4:7]
	ds_store_b128 v8, v[0:3] offset:272
	scratch_load_b32 v8, off, off offset:324 ; 4-byte Folded Reload
	v_add_f64 v[0:1], v[12:13], -v[40:41]
	v_add_f64 v[2:3], v[14:15], -v[42:43]
	s_delay_alu instid0(VALU_DEP_2) | instskip(NEXT) | instid1(VALU_DEP_2)
	v_fma_f64 v[4:5], v[12:13], 2.0, -v[0:1]
	v_fma_f64 v[6:7], v[14:15], 2.0, -v[2:3]
	;; [unrolled: 1-line block ×3, first 2 shown]
	s_waitcnt vmcnt(0)
	ds_store_b128 v8, v[4:7]
	ds_store_b128 v8, v[0:3] offset:272
	scratch_load_b32 v8, off, off offset:320 ; 4-byte Folded Reload
	v_add_f64 v[0:1], v[16:17], -v[44:45]
	v_add_f64 v[2:3], v[18:19], -v[46:47]
	s_delay_alu instid0(VALU_DEP_2) | instskip(NEXT) | instid1(VALU_DEP_2)
	v_fma_f64 v[4:5], v[16:17], 2.0, -v[0:1]
	v_fma_f64 v[6:7], v[18:19], 2.0, -v[2:3]
	v_add_f64 v[16:17], v[32:33], -v[60:61]
	v_add_f64 v[18:19], v[34:35], -v[62:63]
	s_waitcnt vmcnt(0)
	ds_store_b128 v8, v[4:7]
	ds_store_b128 v8, v[0:3] offset:272
	scratch_load_b32 v8, off, off offset:312 ; 4-byte Folded Reload
	v_add_f64 v[0:1], v[20:21], -v[48:49]
	v_add_f64 v[2:3], v[22:23], -v[50:51]
	s_delay_alu instid0(VALU_DEP_2) | instskip(NEXT) | instid1(VALU_DEP_2)
	v_fma_f64 v[4:5], v[20:21], 2.0, -v[0:1]
	v_fma_f64 v[6:7], v[22:23], 2.0, -v[2:3]
	;; [unrolled: 1-line block ×4, first 2 shown]
	s_waitcnt vmcnt(0)
	ds_store_b128 v8, v[4:7]
	ds_store_b128 v8, v[0:3] offset:272
	v_add_f64 v[0:1], v[24:25], -v[52:53]
	v_add_f64 v[2:3], v[26:27], -v[54:55]
	;; [unrolled: 1-line block ×3, first 2 shown]
	s_delay_alu instid0(VALU_DEP_3)
	v_fma_f64 v[4:5], v[24:25], 2.0, -v[0:1]
	scratch_load_b32 v24, off, off offset:308 ; 4-byte Folded Reload
	v_fma_f64 v[6:7], v[26:27], 2.0, -v[2:3]
	v_fma_f64 v[12:13], v[28:29], 2.0, -v[8:9]
	s_waitcnt vmcnt(0)
	ds_store_b128 v24, v[4:7]
	ds_store_b128 v24, v[0:3] offset:272
	scratch_load_b32 v0, off, off offset:304 ; 4-byte Folded Reload
	s_waitcnt vmcnt(0)
	ds_store_b128 v0, v[12:15]
	ds_store_b128 v0, v[8:11] offset:272
	scratch_load_b32 v0, off, off offset:300 ; 4-byte Folded Reload
	s_waitcnt vmcnt(0)
	ds_store_b128 v0, v[20:23]
	ds_store_b128 v0, v[16:19] offset:272
	s_waitcnt lgkmcnt(0)
	s_barrier
	buffer_gl0_inv
	ds_load_b128 v[0:3], v110 offset:15232
	ds_load_b128 v[4:7], v110 offset:17136
	s_clause 0x3
	scratch_load_b128 v[26:29], off, off offset:252
	scratch_load_b128 v[34:37], off, off offset:228
	;; [unrolled: 1-line block ×4, first 2 shown]
	ds_load_b128 v[8:11], v110 offset:19040
	ds_load_b128 v[12:15], v110 offset:20944
	scratch_load_b128 v[50:53], off, off offset:172 ; 16-byte Folded Reload
	s_waitcnt vmcnt(4) lgkmcnt(3)
	v_mul_f64 v[16:17], v[28:29], v[2:3]
	v_mul_f64 v[18:19], v[28:29], v[0:1]
	s_waitcnt vmcnt(2) lgkmcnt(1)
	v_mul_f64 v[24:25], v[32:33], v[10:11]
	v_mul_f64 v[20:21], v[36:37], v[6:7]
	;; [unrolled: 1-line block ×3, first 2 shown]
	s_waitcnt vmcnt(1) lgkmcnt(0)
	v_mul_f64 v[28:29], v[48:49], v[14:15]
	v_fma_f64 v[16:17], v[26:27], v[0:1], v[16:17]
	v_fma_f64 v[18:19], v[26:27], v[2:3], -v[18:19]
	v_mul_f64 v[26:27], v[32:33], v[8:9]
	v_fma_f64 v[40:41], v[30:31], v[8:9], v[24:25]
	ds_load_b128 v[0:3], v110 offset:22848
	v_fma_f64 v[36:37], v[34:35], v[4:5], v[20:21]
	v_mul_f64 v[20:21], v[48:49], v[12:13]
	v_fma_f64 v[38:39], v[34:35], v[6:7], -v[22:23]
	ds_load_b128 v[4:7], v110 offset:24752
	v_fma_f64 v[44:45], v[46:47], v[12:13], v[28:29]
	v_fma_f64 v[42:43], v[30:31], v[10:11], -v[26:27]
	scratch_load_b128 v[30:33], off, off offset:156 ; 16-byte Folded Reload
	s_waitcnt vmcnt(1) lgkmcnt(1)
	v_mul_f64 v[22:23], v[52:53], v[2:3]
	v_mul_f64 v[24:25], v[52:53], v[0:1]
	ds_load_b128 v[8:11], v110
	v_fma_f64 v[46:47], v[46:47], v[14:15], -v[20:21]
	ds_load_b128 v[12:15], v110 offset:1904
	s_waitcnt lgkmcnt(1)
	v_add_f64 v[16:17], v[8:9], -v[16:17]
	v_add_f64 v[18:19], v[10:11], -v[18:19]
	v_fma_f64 v[48:49], v[50:51], v[0:1], v[22:23]
	v_fma_f64 v[50:51], v[50:51], v[2:3], -v[24:25]
	ds_load_b128 v[0:3], v110 offset:26656
	ds_load_b128 v[20:23], v110 offset:28560
	s_waitcnt lgkmcnt(1)
	v_mul_f64 v[24:25], v[86:87], v[2:3]
	s_delay_alu instid0(VALU_DEP_1) | instskip(SKIP_3) | instid1(VALU_DEP_2)
	v_fma_f64 v[56:57], v[84:85], v[0:1], v[24:25]
	s_waitcnt vmcnt(0)
	v_mul_f64 v[26:27], v[32:33], v[6:7]
	v_mul_f64 v[28:29], v[32:33], v[4:5]
	v_fma_f64 v[52:53], v[30:31], v[4:5], v[26:27]
	s_delay_alu instid0(VALU_DEP_2)
	v_fma_f64 v[54:55], v[30:31], v[6:7], -v[28:29]
	v_mul_f64 v[26:27], v[86:87], v[0:1]
	s_waitcnt lgkmcnt(0)
	v_mul_f64 v[28:29], v[82:83], v[22:23]
	v_fma_f64 v[4:5], v[8:9], 2.0, -v[16:17]
	v_mul_f64 v[8:9], v[82:83], v[20:21]
	v_fma_f64 v[6:7], v[10:11], 2.0, -v[18:19]
	v_fma_f64 v[58:59], v[84:85], v[2:3], -v[26:27]
	v_fma_f64 v[60:61], v[80:81], v[20:21], v[28:29]
	s_delay_alu instid0(VALU_DEP_4)
	v_fma_f64 v[62:63], v[80:81], v[22:23], -v[8:9]
	ds_load_b128 v[0:3], v110 offset:3808
	ds_load_b128 v[8:11], v110 offset:5712
	;; [unrolled: 1-line block ×6, first 2 shown]
	s_waitcnt lgkmcnt(0)
	s_barrier
	buffer_gl0_inv
	scratch_load_b32 v64, off, off offset:248 ; 4-byte Folded Reload
	s_waitcnt vmcnt(0)
	ds_store_b128 v64, v[16:19] offset:544
	ds_store_b128 v64, v[4:7]
	v_add_f64 v[16:17], v[12:13], -v[36:37]
	v_add_f64 v[36:37], v[0:1], -v[40:41]
	;; [unrolled: 1-line block ×14, first 2 shown]
	v_fma_f64 v[12:13], v[12:13], 2.0, -v[16:17]
	v_fma_f64 v[56:57], v[0:1], 2.0, -v[36:37]
	;; [unrolled: 1-line block ×3, first 2 shown]
	scratch_load_b32 v32, off, off offset:280 ; 4-byte Folded Reload
	v_fma_f64 v[8:9], v[8:9], 2.0, -v[40:41]
	v_fma_f64 v[20:21], v[20:21], 2.0, -v[44:45]
	;; [unrolled: 1-line block ×11, first 2 shown]
	s_waitcnt vmcnt(0)
	ds_store_b128 v32, v[12:15]
	ds_store_b128 v32, v[16:19] offset:544
	scratch_load_b32 v12, off, off offset:276 ; 4-byte Folded Reload
	s_waitcnt vmcnt(0)
	ds_store_b128 v12, v[56:59]
	ds_store_b128 v12, v[36:39] offset:544
	scratch_load_b32 v12, off, off offset:272 ; 4-byte Folded Reload
	;; [unrolled: 4-line block ×6, first 2 shown]
	s_waitcnt vmcnt(0)
	ds_store_b128 v8, v[0:3]
	ds_store_b128 v8, v[4:7] offset:544
	s_waitcnt lgkmcnt(0)
	s_barrier
	buffer_gl0_inv
	ds_load_b128 v[12:15], v110
	ds_load_b128 v[8:11], v110 offset:1904
	ds_load_b128 v[56:59], v110 offset:4352
	;; [unrolled: 1-line block ×13, first 2 shown]
	s_and_saveexec_b32 s1, s0
	s_cbranch_execz .LBB0_19
; %bb.18:
	ds_load_b128 v[0:3], v110 offset:3808
	ds_load_b128 v[4:7], v110 offset:8160
	;; [unrolled: 1-line block ×4, first 2 shown]
	s_waitcnt lgkmcnt(0)
	scratch_store_b128 off, v[40:43], off offset:12 ; 16-byte Folded Spill
	ds_load_b128 v[198:201], v110 offset:21216
	ds_load_b128 v[170:173], v110 offset:25568
	;; [unrolled: 1-line block ×3, first 2 shown]
.LBB0_19:
	s_or_b32 exec_lo, exec_lo, s1
	s_clause 0x2
	scratch_load_b128 v[114:117], off, off offset:284
	scratch_load_b128 v[122:125], off, off offset:364
	;; [unrolled: 1-line block ×3, first 2 shown]
	s_mov_b32 s16, 0x37e14327
	s_mov_b32 s18, 0xe976ee23
	;; [unrolled: 1-line block ×20, first 2 shown]
	s_waitcnt vmcnt(2) lgkmcnt(11)
	v_mul_f64 v[40:41], v[116:117], v[58:59]
	v_mul_f64 v[42:43], v[116:117], v[56:57]
	scratch_load_b128 v[116:119], off, off offset:332 ; 16-byte Folded Reload
	s_waitcnt vmcnt(2) lgkmcnt(1)
	v_mul_f64 v[68:69], v[124:125], v[74:75]
	v_mul_f64 v[70:71], v[124:125], v[72:73]
	scratch_load_b128 v[124:127], off, off offset:380 ; 16-byte Folded Reload
	v_fma_f64 v[40:41], v[114:115], v[56:57], v[40:41]
	v_fma_f64 v[42:43], v[114:115], v[58:59], -v[42:43]
	v_fma_f64 v[56:57], v[122:123], v[72:73], v[68:69]
	v_fma_f64 v[58:59], v[122:123], v[74:75], -v[70:71]
	s_delay_alu instid0(VALU_DEP_2) | instskip(NEXT) | instid1(VALU_DEP_2)
	v_add_f64 v[72:73], v[40:41], v[56:57]
	v_add_f64 v[74:75], v[42:43], v[58:59]
	s_waitcnt vmcnt(1)
	v_mul_f64 v[48:49], v[118:119], v[62:63]
	v_mul_f64 v[50:51], v[118:119], v[60:61]
	scratch_load_b128 v[118:121], off, off offset:348 ; 16-byte Folded Reload
	v_mul_f64 v[76:77], v[130:131], v[66:67]
	v_mul_f64 v[78:79], v[130:131], v[64:65]
	scratch_load_b128 v[130:133], off, off offset:412 ; 16-byte Folded Reload
	s_waitcnt vmcnt(2)
	v_mul_f64 v[100:101], v[126:127], v[30:31]
	v_mul_f64 v[102:103], v[126:127], v[28:29]
	v_fma_f64 v[48:49], v[116:117], v[60:61], v[48:49]
	v_fma_f64 v[50:51], v[116:117], v[62:63], -v[50:51]
	scratch_load_b128 v[114:117], off, off offset:444 ; 16-byte Folded Reload
	v_fma_f64 v[60:61], v[128:129], v[64:65], v[76:77]
	v_fma_f64 v[62:63], v[128:129], v[66:67], -v[78:79]
	v_fma_f64 v[28:29], v[124:125], v[28:29], v[100:101]
	v_fma_f64 v[30:31], v[124:125], v[30:31], -v[102:103]
	s_delay_alu instid0(VALU_DEP_4) | instskip(NEXT) | instid1(VALU_DEP_4)
	v_add_f64 v[76:77], v[48:49], v[60:61]
	v_add_f64 v[78:79], v[50:51], v[62:63]
	v_add_f64 v[48:49], v[48:49], -v[60:61]
	v_add_f64 v[50:51], v[50:51], -v[62:63]
	s_waitcnt vmcnt(2)
	v_mul_f64 v[96:97], v[120:121], v[26:27]
	v_mul_f64 v[98:99], v[120:121], v[24:25]
	scratch_load_b128 v[120:123], off, off offset:492 ; 16-byte Folded Reload
	s_waitcnt vmcnt(2)
	v_mul_f64 v[80:81], v[132:133], v[34:35]
	v_mul_f64 v[82:83], v[132:133], v[32:33]
	scratch_load_b128 v[132:135], off, off offset:428 ; 16-byte Folded Reload
	s_waitcnt vmcnt(2)
	v_mul_f64 v[64:65], v[116:117], v[18:19]
	v_mul_f64 v[66:67], v[116:117], v[16:17]
	v_fma_f64 v[24:25], v[118:119], v[24:25], v[96:97]
	v_fma_f64 v[32:33], v[130:131], v[32:33], v[80:81]
	v_fma_f64 v[34:35], v[130:131], v[34:35], -v[82:83]
	v_fma_f64 v[26:27], v[118:119], v[26:27], -v[98:99]
	v_fma_f64 v[16:17], v[114:115], v[16:17], v[64:65]
	v_fma_f64 v[18:19], v[114:115], v[18:19], -v[66:67]
	v_add_f64 v[80:81], v[24:25], v[28:29]
	v_add_f64 v[24:25], v[28:29], -v[24:25]
	v_add_f64 v[28:29], v[40:41], -v[56:57]
	v_add_f64 v[82:83], v[26:27], v[30:31]
	v_add_f64 v[26:27], v[30:31], -v[26:27]
	v_add_f64 v[30:31], v[42:43], -v[58:59]
	v_add_f64 v[40:41], v[76:77], v[72:73]
	v_add_f64 v[42:43], v[78:79], v[74:75]
	v_add_f64 v[56:57], v[80:81], -v[76:77]
	v_add_f64 v[60:61], v[24:25], -v[48:49]
	;; [unrolled: 1-line block ×4, first 2 shown]
	v_add_f64 v[40:41], v[80:81], v[40:41]
	v_add_f64 v[42:43], v[82:83], v[42:43]
	v_mul_f64 v[60:61], v[60:61], s[18:19]
	s_delay_alu instid0(VALU_DEP_4) | instskip(NEXT) | instid1(VALU_DEP_4)
	v_mul_f64 v[62:63], v[62:63], s[18:19]
	v_add_f64 v[12:13], v[12:13], v[40:41]
	s_delay_alu instid0(VALU_DEP_4) | instskip(NEXT) | instid1(VALU_DEP_2)
	v_add_f64 v[14:15], v[14:15], v[42:43]
	v_fma_f64 v[40:41], v[40:41], s[10:11], v[12:13]
	s_delay_alu instid0(VALU_DEP_2)
	v_fma_f64 v[42:43], v[42:43], s[10:11], v[14:15]
	s_waitcnt vmcnt(1)
	v_mul_f64 v[68:69], v[122:123], v[22:23]
	v_mul_f64 v[70:71], v[122:123], v[20:21]
	s_waitcnt vmcnt(0)
	v_mul_f64 v[84:85], v[134:135], v[38:39]
	v_mul_f64 v[86:87], v[134:135], v[36:37]
	scratch_load_b128 v[134:137], off, off offset:460 ; 16-byte Folded Reload
	v_fma_f64 v[20:21], v[120:121], v[20:21], v[68:69]
	v_fma_f64 v[22:23], v[120:121], v[22:23], -v[70:71]
	v_fma_f64 v[36:37], v[132:133], v[36:37], v[84:85]
	v_fma_f64 v[38:39], v[132:133], v[38:39], -v[86:87]
	v_add_f64 v[84:85], v[48:49], -v[28:29]
	v_add_f64 v[86:87], v[50:51], -v[30:31]
	v_add_f64 v[48:49], v[24:25], v[48:49]
	v_add_f64 v[50:51], v[26:27], v[50:51]
	v_add_f64 v[24:25], v[28:29], -v[24:25]
	v_add_f64 v[26:27], v[30:31], -v[26:27]
	v_mul_f64 v[96:97], v[84:85], s[2:3]
	v_mul_f64 v[98:99], v[86:87], s[2:3]
	v_add_f64 v[28:29], v[48:49], v[28:29]
	v_add_f64 v[30:31], v[50:51], v[30:31]
	s_waitcnt vmcnt(0) lgkmcnt(0)
	v_mul_f64 v[88:89], v[136:137], v[54:55]
	v_mul_f64 v[90:91], v[136:137], v[52:53]
	scratch_load_b128 v[136:139], off, off offset:476 ; 16-byte Folded Reload
	s_waitcnt vmcnt(0)
	s_waitcnt_vscnt null, 0x0
	s_barrier
	buffer_gl0_inv
	v_fma_f64 v[52:53], v[134:135], v[52:53], v[88:89]
	v_fma_f64 v[54:55], v[134:135], v[54:55], -v[90:91]
	s_delay_alu instid0(VALU_DEP_2) | instskip(NEXT) | instid1(VALU_DEP_2)
	v_add_f64 v[64:65], v[32:33], v[52:53]
	v_add_f64 v[66:67], v[34:35], v[54:55]
	v_mul_f64 v[92:93], v[138:139], v[46:47]
	v_mul_f64 v[94:95], v[138:139], v[44:45]
	s_delay_alu instid0(VALU_DEP_2) | instskip(NEXT) | instid1(VALU_DEP_2)
	v_fma_f64 v[44:45], v[136:137], v[44:45], v[92:93]
	v_fma_f64 v[46:47], v[136:137], v[46:47], -v[94:95]
	s_delay_alu instid0(VALU_DEP_2) | instskip(NEXT) | instid1(VALU_DEP_2)
	v_add_f64 v[68:69], v[36:37], v[44:45]
	v_add_f64 v[70:71], v[38:39], v[46:47]
	v_add_f64 v[36:37], v[36:37], -v[44:45]
	v_add_f64 v[38:39], v[38:39], -v[46:47]
	v_add_f64 v[44:45], v[16:17], v[20:21]
	v_add_f64 v[46:47], v[18:19], v[22:23]
	v_add_f64 v[16:17], v[20:21], -v[16:17]
	v_add_f64 v[18:19], v[22:23], -v[18:19]
	;; [unrolled: 1-line block ×8, first 2 shown]
	v_mul_f64 v[76:77], v[56:57], s[8:9]
	v_mul_f64 v[78:79], v[58:59], s[8:9]
	v_add_f64 v[32:33], v[68:69], v[64:65]
	v_add_f64 v[34:35], v[70:71], v[66:67]
	v_add_f64 v[80:81], v[64:65], -v[44:45]
	v_add_f64 v[82:83], v[66:67], -v[46:47]
	;; [unrolled: 1-line block ×6, first 2 shown]
	v_add_f64 v[36:37], v[16:17], v[36:37]
	v_add_f64 v[38:39], v[18:19], v[38:39]
	v_mul_f64 v[52:53], v[52:53], s[16:17]
	v_mul_f64 v[54:55], v[54:55], s[16:17]
	v_add_f64 v[16:17], v[20:21], -v[16:17]
	v_add_f64 v[18:19], v[22:23], -v[18:19]
	;; [unrolled: 1-line block ×4, first 2 shown]
	v_fma_f64 v[48:49], v[72:73], s[20:21], -v[76:77]
	v_fma_f64 v[50:51], v[74:75], s[20:21], -v[78:79]
	v_add_f64 v[32:33], v[44:45], v[32:33]
	v_add_f64 v[34:35], v[46:47], v[34:35]
	v_add_f64 v[44:45], v[44:45], -v[68:69]
	v_add_f64 v[46:47], v[46:47], -v[70:71]
	v_mul_f64 v[80:81], v[80:81], s[16:17]
	v_mul_f64 v[82:83], v[82:83], s[16:17]
	;; [unrolled: 1-line block ×6, first 2 shown]
	v_add_f64 v[20:21], v[36:37], v[20:21]
	v_add_f64 v[22:23], v[38:39], v[22:23]
	v_fma_f64 v[36:37], v[56:57], s[8:9], v[52:53]
	v_fma_f64 v[38:39], v[58:59], s[8:9], v[54:55]
	;; [unrolled: 1-line block ×4, first 2 shown]
	v_fma_f64 v[24:25], v[24:25], s[26:27], -v[96:97]
	v_fma_f64 v[26:27], v[26:27], s[26:27], -v[98:99]
	;; [unrolled: 1-line block ×6, first 2 shown]
	v_add_f64 v[8:9], v[8:9], v[32:33]
	v_add_f64 v[10:11], v[10:11], v[34:35]
	v_mul_f64 v[68:69], v[44:45], s[8:9]
	v_mul_f64 v[70:71], v[46:47], s[8:9]
	v_fma_f64 v[44:45], v[44:45], s[8:9], v[80:81]
	v_fma_f64 v[46:47], v[46:47], s[8:9], v[82:83]
	;; [unrolled: 1-line block ×4, first 2 shown]
	v_fma_f64 v[16:17], v[16:17], s[26:27], -v[100:101]
	v_fma_f64 v[18:19], v[18:19], s[26:27], -v[102:103]
	;; [unrolled: 1-line block ×6, first 2 shown]
	v_fma_f64 v[56:57], v[28:29], s[28:29], v[56:57]
	v_fma_f64 v[58:59], v[30:31], s[28:29], v[58:59]
	v_add_f64 v[36:37], v[36:37], v[40:41]
	v_add_f64 v[38:39], v[38:39], v[42:43]
	;; [unrolled: 1-line block ×4, first 2 shown]
	v_fma_f64 v[60:61], v[28:29], s[28:29], v[60:61]
	v_fma_f64 v[62:63], v[30:31], s[28:29], v[62:63]
	;; [unrolled: 1-line block ×4, first 2 shown]
	v_fma_f64 v[64:65], v[64:65], s[20:21], -v[68:69]
	v_fma_f64 v[66:67], v[66:67], s[20:21], -v[70:71]
	v_fma_f64 v[68:69], v[28:29], s[28:29], v[24:25]
	v_fma_f64 v[70:71], v[30:31], s[28:29], v[26:27]
	v_add_f64 v[28:29], v[48:49], v[40:41]
	v_add_f64 v[30:31], v[50:51], v[42:43]
	v_fma_f64 v[72:73], v[20:21], s[28:29], v[72:73]
	v_fma_f64 v[74:75], v[22:23], s[28:29], v[74:75]
	;; [unrolled: 1-line block ×6, first 2 shown]
	v_add_f64 v[16:17], v[58:59], v[36:37]
	v_add_f64 v[18:19], v[38:39], -v[56:57]
	v_add_f64 v[36:37], v[36:37], -v[58:59]
	v_add_f64 v[38:39], v[56:57], v[38:39]
	v_add_f64 v[88:89], v[44:45], v[32:33]
	;; [unrolled: 1-line block ×8, first 2 shown]
	v_add_f64 v[22:23], v[54:55], -v[68:69]
	v_add_f64 v[24:25], v[28:29], -v[62:63]
	v_add_f64 v[26:27], v[60:61], v[30:31]
	v_add_f64 v[28:29], v[62:63], v[28:29]
	v_add_f64 v[30:31], v[30:31], -v[60:61]
	v_add_f64 v[32:33], v[52:53], -v[70:71]
	v_add_f64 v[34:35], v[68:69], v[54:55]
	v_add_f64 v[40:41], v[74:75], v[88:89]
	v_add_f64 v[42:43], v[90:91], -v[72:73]
	v_add_f64 v[44:45], v[86:87], v[80:81]
	v_add_f64 v[46:47], v[82:83], -v[84:85]
	v_add_f64 v[48:49], v[64:65], -v[78:79]
	v_add_f64 v[50:51], v[76:77], v[66:67]
	v_add_f64 v[52:53], v[78:79], v[64:65]
	v_add_f64 v[54:55], v[66:67], -v[76:77]
	v_add_f64 v[56:57], v[80:81], -v[86:87]
	v_add_f64 v[58:59], v[84:85], v[82:83]
	v_add_f64 v[60:61], v[88:89], -v[74:75]
	v_add_f64 v[62:63], v[72:73], v[90:91]
	ds_store_b128 v113, v[12:15]
	ds_store_b128 v113, v[16:19] offset:1088
	ds_store_b128 v113, v[20:23] offset:2176
	ds_store_b128 v113, v[24:27] offset:3264
	ds_store_b128 v113, v[28:31] offset:4352
	ds_store_b128 v113, v[32:35] offset:5440
	ds_store_b128 v113, v[36:39] offset:6528
	ds_store_b128 v112, v[8:11]
	ds_store_b128 v112, v[40:43] offset:1088
	ds_store_b128 v112, v[44:47] offset:2176
	;; [unrolled: 1-line block ×6, first 2 shown]
	s_mov_b32 s1, exec_lo
	scratch_load_b32 v96, off, off offset:8 ; 4-byte Folded Reload
	s_and_b32 s0, s1, s0
	s_delay_alu instid0(SALU_CYCLE_1)
	s_mov_b32 exec_lo, s0
	s_cbranch_execz .LBB0_21
; %bb.20:
	s_clause 0x3
	scratch_load_b128 v[40:43], off, off offset:600
	scratch_load_b128 v[46:49], off, off offset:632
	;; [unrolled: 1-line block ×4, first 2 shown]
	v_mul_f64 v[10:11], v[106:107], v[4:5]
	v_mul_f64 v[16:17], v[106:107], v[6:7]
	s_delay_alu instid0(VALU_DEP_2) | instskip(NEXT) | instid1(VALU_DEP_2)
	v_fma_f64 v[6:7], v[104:105], v[6:7], -v[10:11]
	v_fma_f64 v[4:5], v[104:105], v[4:5], v[16:17]
	s_waitcnt vmcnt(3)
	v_mul_f64 v[12:13], v[42:43], v[170:171]
	v_mul_f64 v[22:23], v[42:43], v[172:173]
	s_clause 0x1
	scratch_load_b128 v[42:45], off, off offset:616
	scratch_load_b128 v[50:53], off, off offset:12
	s_waitcnt vmcnt(3)
	v_mul_f64 v[8:9], v[38:39], v[174:175]
	s_waitcnt vmcnt(2)
	v_mul_f64 v[14:15], v[34:35], v[164:165]
	v_mul_f64 v[18:19], v[38:39], v[176:177]
	;; [unrolled: 1-line block ×5, first 2 shown]
	v_fma_f64 v[10:11], v[40:41], v[172:173], -v[12:13]
	v_fma_f64 v[8:9], v[36:37], v[176:177], -v[8:9]
	;; [unrolled: 1-line block ×3, first 2 shown]
	v_fma_f64 v[14:15], v[36:37], v[174:175], v[18:19]
	v_fma_f64 v[16:17], v[32:33], v[164:165], v[20:21]
	v_fma_f64 v[18:19], v[40:41], v[170:171], v[22:23]
	v_fma_f64 v[20:21], v[46:47], v[198:199], v[24:25]
	s_delay_alu instid0(VALU_DEP_4) | instskip(SKIP_1) | instid1(VALU_DEP_4)
	v_add_f64 v[32:33], v[4:5], v[14:15]
	v_add_f64 v[4:5], v[4:5], -v[14:15]
	v_add_f64 v[34:35], v[16:17], v[18:19]
	v_add_f64 v[16:17], v[16:17], -v[18:19]
	s_delay_alu instid0(VALU_DEP_1) | instskip(SKIP_3) | instid1(VALU_DEP_2)
	v_add_f64 v[38:39], v[16:17], -v[4:5]
	s_waitcnt vmcnt(0)
	v_mul_f64 v[26:27], v[44:45], v[52:53]
	v_mul_f64 v[28:29], v[44:45], v[50:51]
	v_fma_f64 v[22:23], v[42:43], v[50:51], v[26:27]
	s_delay_alu instid0(VALU_DEP_2)
	v_fma_f64 v[24:25], v[42:43], v[52:53], -v[28:29]
	v_fma_f64 v[26:27], v[46:47], v[200:201], -v[30:31]
	v_add_f64 v[28:29], v[6:7], v[8:9]
	v_add_f64 v[30:31], v[12:13], v[10:11]
	v_add_f64 v[10:11], v[12:13], -v[10:11]
	v_add_f64 v[6:7], v[6:7], -v[8:9]
	v_add_f64 v[8:9], v[34:35], v[32:33]
	v_add_f64 v[36:37], v[20:21], -v[22:23]
	v_add_f64 v[20:21], v[22:23], v[20:21]
	v_add_f64 v[18:19], v[24:25], v[26:27]
	v_add_f64 v[22:23], v[26:27], -v[24:25]
	v_add_f64 v[14:15], v[30:31], v[28:29]
	v_add_f64 v[42:43], v[10:11], -v[6:7]
	v_add_f64 v[12:13], v[36:37], -v[16:17]
	;; [unrolled: 1-line block ×5, first 2 shown]
	v_add_f64 v[14:15], v[18:19], v[14:15]
	v_add_f64 v[18:19], v[18:19], -v[30:31]
	v_add_f64 v[8:9], v[20:21], v[8:9]
	v_add_f64 v[20:21], v[20:21], -v[34:35]
	v_add_f64 v[44:45], v[4:5], -v[36:37]
	v_add_f64 v[16:17], v[36:37], v[16:17]
	v_add_f64 v[10:11], v[22:23], v[10:11]
	v_mul_f64 v[36:37], v[38:39], s[2:3]
	v_add_f64 v[22:23], v[6:7], -v[22:23]
	v_add_f64 v[28:29], v[30:31], -v[28:29]
	v_mul_f64 v[46:47], v[42:43], s[2:3]
	v_add_f64 v[32:33], v[34:35], -v[32:33]
	v_mul_f64 v[12:13], v[12:13], s[18:19]
	v_mul_f64 v[26:27], v[26:27], s[16:17]
	;; [unrolled: 1-line block ×4, first 2 shown]
	v_add_f64 v[2:3], v[2:3], v[14:15]
	v_mul_f64 v[30:31], v[18:19], s[8:9]
	v_add_f64 v[0:1], v[0:1], v[8:9]
	v_mul_f64 v[34:35], v[20:21], s[8:9]
	v_add_f64 v[4:5], v[16:17], v[4:5]
	v_add_f64 v[6:7], v[10:11], v[6:7]
	v_fma_f64 v[10:11], v[44:45], s[24:25], v[12:13]
	v_fma_f64 v[12:13], v[38:39], s[2:3], -v[12:13]
	v_fma_f64 v[16:17], v[18:19], s[8:9], v[24:25]
	v_fma_f64 v[18:19], v[20:21], s[8:9], v[26:27]
	v_fma_f64 v[20:21], v[44:45], s[26:27], -v[36:37]
	v_fma_f64 v[14:15], v[14:15], s[10:11], v[2:3]
	v_fma_f64 v[24:25], v[28:29], s[22:23], -v[24:25]
	v_fma_f64 v[28:29], v[28:29], s[20:21], -v[30:31]
	v_fma_f64 v[30:31], v[22:23], s[24:25], v[40:41]
	v_fma_f64 v[8:9], v[8:9], s[10:11], v[0:1]
	v_fma_f64 v[22:23], v[22:23], s[26:27], -v[46:47]
	v_fma_f64 v[26:27], v[32:33], s[22:23], -v[26:27]
	;; [unrolled: 1-line block ×4, first 2 shown]
	v_fma_f64 v[34:35], v[4:5], s[28:29], v[10:11]
	v_fma_f64 v[20:21], v[4:5], s[28:29], v[20:21]
	;; [unrolled: 1-line block ×3, first 2 shown]
	v_add_f64 v[12:13], v[16:17], v[14:15]
	v_add_f64 v[16:17], v[24:25], v[14:15]
	;; [unrolled: 1-line block ×3, first 2 shown]
	v_fma_f64 v[28:29], v[6:7], s[28:29], v[30:31]
	v_add_f64 v[38:39], v[18:19], v[8:9]
	v_fma_f64 v[30:31], v[6:7], s[28:29], v[22:23]
	v_add_f64 v[40:41], v[26:27], v[8:9]
	v_fma_f64 v[36:37], v[6:7], s[28:29], v[36:37]
	v_add_f64 v[8:9], v[32:33], v[8:9]
	v_add_f64 v[26:27], v[12:13], -v[34:35]
	v_add_f64 v[10:11], v[20:21], v[16:17]
	v_add_f64 v[14:15], v[24:25], -v[4:5]
	v_add_f64 v[18:19], v[4:5], v[24:25]
	v_add_f64 v[24:25], v[28:29], v[38:39]
	v_add_f64 v[22:23], v[16:17], -v[20:21]
	v_add_f64 v[20:21], v[30:31], v[40:41]
	;; [unrolled: 3-line block ×3, first 2 shown]
	v_add_f64 v[8:9], v[40:41], -v[30:31]
	v_add_f64 v[4:5], v[38:39], -v[28:29]
	v_lshlrev_b32_e32 v28, 4, v111
	ds_store_b128 v28, v[0:3] offset:22848
	ds_store_b128 v28, v[24:27] offset:23936
	;; [unrolled: 1-line block ×7, first 2 shown]
.LBB0_21:
	s_or_b32 exec_lo, exec_lo, s1
	s_waitcnt vmcnt(0) lgkmcnt(0)
	s_barrier
	buffer_gl0_inv
	ds_load_b128 v[0:3], v110 offset:7616
	ds_load_b128 v[4:7], v110 offset:15232
	;; [unrolled: 1-line block ×12, first 2 shown]
	s_clause 0x1
	scratch_load_b128 v[97:100], off, off offset:512
	scratch_load_b128 v[103:106], off, off offset:544
	s_waitcnt lgkmcnt(11)
	v_mul_f64 v[48:49], v[142:143], v[2:3]
	v_mul_f64 v[50:51], v[142:143], v[0:1]
	s_waitcnt lgkmcnt(10)
	v_mul_f64 v[52:53], v[150:151], v[6:7]
	v_mul_f64 v[54:55], v[150:151], v[4:5]
	;; [unrolled: 3-line block ×9, first 2 shown]
	v_fma_f64 v[48:49], v[140:141], v[0:1], v[48:49]
	v_fma_f64 v[50:51], v[140:141], v[2:3], -v[50:51]
	v_fma_f64 v[52:53], v[148:149], v[4:5], v[52:53]
	v_fma_f64 v[54:55], v[148:149], v[6:7], -v[54:55]
	v_fma_f64 v[56:57], v[144:145], v[8:9], v[56:57]
	v_fma_f64 v[58:59], v[144:145], v[10:11], -v[58:59]
	v_fma_f64 v[60:61], v[156:157], v[12:13], v[60:61]
	v_fma_f64 v[62:63], v[156:157], v[14:15], -v[62:63]
	v_fma_f64 v[16:17], v[178:179], v[16:17], v[64:65]
	v_fma_f64 v[18:19], v[178:179], v[18:19], -v[66:67]
	v_fma_f64 v[20:21], v[182:183], v[20:21], v[68:69]
	v_fma_f64 v[22:23], v[182:183], v[22:23], -v[70:71]
	v_fma_f64 v[24:25], v[186:187], v[24:25], v[72:73]
	v_fma_f64 v[26:27], v[186:187], v[26:27], -v[74:75]
	v_fma_f64 v[32:33], v[194:195], v[32:33], v[80:81]
	v_fma_f64 v[34:35], v[194:195], v[34:35], -v[82:83]
	v_fma_f64 v[40:41], v[190:191], v[40:41], v[88:89]
	v_fma_f64 v[42:43], v[190:191], v[42:43], -v[90:91]
	v_add_f64 v[56:57], v[48:49], -v[56:57]
	v_add_f64 v[58:59], v[50:51], -v[58:59]
	s_waitcnt vmcnt(1)
	v_mul_f64 v[76:77], v[99:100], v[30:31]
	v_mul_f64 v[78:79], v[99:100], v[28:29]
	scratch_load_b128 v[99:102], off, off offset:528 ; 16-byte Folded Reload
	s_waitcnt vmcnt(1)
	v_mul_f64 v[84:85], v[105:106], v[38:39]
	v_mul_f64 v[86:87], v[105:106], v[36:37]
	ds_load_b128 v[0:3], v110
	ds_load_b128 v[4:7], v110 offset:1904
	ds_load_b128 v[8:11], v110 offset:3808
	ds_load_b128 v[12:15], v110 offset:5712
	s_waitcnt lgkmcnt(3)
	v_add_f64 v[52:53], v[0:1], -v[52:53]
	v_add_f64 v[54:55], v[2:3], -v[54:55]
	s_waitcnt lgkmcnt(2)
	v_add_f64 v[64:65], v[4:5], -v[16:17]
	v_add_f64 v[66:67], v[6:7], -v[18:19]
	;; [unrolled: 1-line block ×6, first 2 shown]
	s_waitcnt lgkmcnt(0)
	v_add_f64 v[72:73], v[12:13], -v[40:41]
	v_add_f64 v[74:75], v[14:15], -v[42:43]
	v_fma_f64 v[32:33], v[48:49], 2.0, -v[56:57]
	v_fma_f64 v[34:35], v[50:51], 2.0, -v[58:59]
	v_fma_f64 v[28:29], v[97:98], v[28:29], v[76:77]
	v_fma_f64 v[30:31], v[97:98], v[30:31], -v[78:79]
	v_fma_f64 v[36:37], v[103:104], v[36:37], v[84:85]
	v_fma_f64 v[38:39], v[103:104], v[38:39], -v[86:87]
	v_fma_f64 v[76:77], v[0:1], 2.0, -v[52:53]
	v_fma_f64 v[78:79], v[2:3], 2.0, -v[54:55]
	;; [unrolled: 1-line block ×10, first 2 shown]
	v_add_f64 v[0:1], v[52:53], v[58:59]
	v_add_f64 v[2:3], v[54:55], -v[56:57]
	v_add_f64 v[4:5], v[64:65], v[18:19]
	v_add_f64 v[6:7], v[66:67], -v[16:17]
	v_add_f64 v[68:69], v[8:9], -v[28:29]
	;; [unrolled: 1-line block ×5, first 2 shown]
	v_fma_f64 v[32:33], v[52:53], 2.0, -v[0:1]
	v_fma_f64 v[34:35], v[54:55], 2.0, -v[2:3]
	;; [unrolled: 1-line block ×4, first 2 shown]
	v_add_f64 v[8:9], v[68:69], v[22:23]
	v_add_f64 v[10:11], v[70:71], -v[20:21]
	v_add_f64 v[20:21], v[80:81], -v[40:41]
	;; [unrolled: 1-line block ×3, first 2 shown]
	v_fma_f64 v[48:49], v[76:77], 2.0, -v[16:17]
	v_fma_f64 v[50:51], v[78:79], 2.0, -v[18:19]
	v_add_f64 v[24:25], v[60:61], -v[24:25]
	v_add_f64 v[26:27], v[62:63], -v[26:27]
	v_fma_f64 v[40:41], v[68:69], 2.0, -v[8:9]
	v_fma_f64 v[42:43], v[70:71], 2.0, -v[10:11]
	;; [unrolled: 1-line block ×6, first 2 shown]
	s_waitcnt vmcnt(0)
	v_mul_f64 v[92:93], v[101:102], v[46:47]
	v_mul_f64 v[94:95], v[101:102], v[44:45]
	s_delay_alu instid0(VALU_DEP_2) | instskip(NEXT) | instid1(VALU_DEP_2)
	v_fma_f64 v[44:45], v[99:100], v[44:45], v[92:93]
	v_fma_f64 v[46:47], v[99:100], v[46:47], -v[94:95]
	s_delay_alu instid0(VALU_DEP_2) | instskip(NEXT) | instid1(VALU_DEP_2)
	v_add_f64 v[28:29], v[36:37], -v[44:45]
	v_add_f64 v[30:31], v[38:39], -v[46:47]
	s_delay_alu instid0(VALU_DEP_2) | instskip(NEXT) | instid1(VALU_DEP_2)
	v_fma_f64 v[36:37], v[36:37], 2.0, -v[28:29]
	v_fma_f64 v[38:39], v[38:39], 2.0, -v[30:31]
	v_add_f64 v[12:13], v[72:73], v[30:31]
	v_add_f64 v[14:15], v[74:75], -v[28:29]
	s_delay_alu instid0(VALU_DEP_4) | instskip(NEXT) | instid1(VALU_DEP_4)
	v_add_f64 v[28:29], v[84:85], -v[36:37]
	v_add_f64 v[30:31], v[86:87], -v[38:39]
	v_fma_f64 v[36:37], v[64:65], 2.0, -v[4:5]
	v_fma_f64 v[38:39], v[66:67], 2.0, -v[6:7]
	;; [unrolled: 1-line block ×6, first 2 shown]
	ds_store_b128 v110, v[0:3] offset:22848
	ds_store_b128 v110, v[4:7] offset:24752
	;; [unrolled: 1-line block ×12, first 2 shown]
	ds_store_b128 v110, v[48:51]
	ds_store_b128 v110, v[52:55] offset:1904
	ds_store_b128 v110, v[56:59] offset:3808
	;; [unrolled: 1-line block ×3, first 2 shown]
	s_waitcnt lgkmcnt(0)
	s_barrier
	buffer_gl0_inv
	s_and_b32 exec_lo, exec_lo, vcc_lo
	s_cbranch_execz .LBB0_23
; %bb.22:
	scratch_load_b32 v27, off, off offset:508 ; 4-byte Folded Reload
	s_mov_b32 s0, 0x1135c811
	s_mov_b32 s1, 0x3f4135c8
	s_mul_i32 s2, s5, 0x700
	s_mul_hi_u32 s3, s4, 0x700
	s_delay_alu instid0(SALU_CYCLE_1)
	s_add_i32 s3, s3, s2
	s_waitcnt vmcnt(0)
	global_load_b128 v[0:3], v27, s[12:13]
	ds_load_b128 v[4:7], v110
	ds_load_b128 v[8:11], v27 offset:1792
	ds_load_b128 v[12:15], v27 offset:28672
	v_add_co_u32 v24, s2, s12, v27
	s_delay_alu instid0(VALU_DEP_1) | instskip(SKIP_3) | instid1(VALU_DEP_2)
	v_add_co_ci_u32_e64 v25, null, s13, 0, s2
	s_waitcnt vmcnt(0) lgkmcnt(2)
	v_mul_f64 v[16:17], v[6:7], v[2:3]
	v_mul_f64 v[2:3], v[4:5], v[2:3]
	v_fma_f64 v[4:5], v[4:5], v[0:1], v[16:17]
	s_delay_alu instid0(VALU_DEP_2)
	v_fma_f64 v[2:3], v[0:1], v[6:7], -v[2:3]
	scratch_load_b64 v[0:1], off, off       ; 8-byte Folded Reload
	v_mad_u64_u32 v[16:17], null, s4, v96, 0
	v_mul_f64 v[2:3], v[2:3], s[0:1]
	s_waitcnt vmcnt(0)
	v_mov_b32_e32 v19, v0
	v_mul_f64 v[0:1], v[4:5], s[0:1]
	s_delay_alu instid0(VALU_DEP_4) | instskip(NEXT) | instid1(VALU_DEP_3)
	v_mov_b32_e32 v5, v17
	v_mad_u64_u32 v[6:7], null, s6, v19, 0
	s_mul_i32 s6, s4, 0x700
	s_delay_alu instid0(VALU_DEP_1) | instskip(NEXT) | instid1(VALU_DEP_1)
	v_mov_b32_e32 v4, v7
	v_mad_u64_u32 v[17:18], null, s7, v19, v[4:5]
	s_delay_alu instid0(VALU_DEP_3) | instskip(NEXT) | instid1(VALU_DEP_2)
	v_mad_u64_u32 v[18:19], null, s5, v96, v[5:6]
	v_mov_b32_e32 v7, v17
	s_delay_alu instid0(VALU_DEP_2) | instskip(NEXT) | instid1(VALU_DEP_2)
	v_mov_b32_e32 v17, v18
	v_lshlrev_b64 v[4:5], 4, v[6:7]
	s_delay_alu instid0(VALU_DEP_2) | instskip(NEXT) | instid1(VALU_DEP_2)
	v_lshlrev_b64 v[6:7], 4, v[16:17]
	v_add_co_u32 v22, vcc_lo, s14, v4
	s_delay_alu instid0(VALU_DEP_3) | instskip(NEXT) | instid1(VALU_DEP_2)
	v_add_co_ci_u32_e32 v23, vcc_lo, s15, v5, vcc_lo
	v_add_co_u32 v4, vcc_lo, v22, v6
	s_delay_alu instid0(VALU_DEP_2) | instskip(NEXT) | instid1(VALU_DEP_2)
	v_add_co_ci_u32_e32 v5, vcc_lo, v23, v7, vcc_lo
	v_add_co_u32 v16, vcc_lo, v4, s6
	global_store_b128 v[4:5], v[0:3], off
	global_load_b128 v[0:3], v27, s[12:13] offset:1792
	v_add_co_ci_u32_e32 v17, vcc_lo, s3, v5, vcc_lo
	s_waitcnt vmcnt(0) lgkmcnt(1)
	v_mul_f64 v[6:7], v[10:11], v[2:3]
	v_mul_f64 v[2:3], v[8:9], v[2:3]
	s_delay_alu instid0(VALU_DEP_2) | instskip(NEXT) | instid1(VALU_DEP_2)
	v_fma_f64 v[6:7], v[8:9], v[0:1], v[6:7]
	v_fma_f64 v[2:3], v[0:1], v[10:11], -v[2:3]
	s_delay_alu instid0(VALU_DEP_2) | instskip(NEXT) | instid1(VALU_DEP_2)
	v_mul_f64 v[0:1], v[6:7], s[0:1]
	v_mul_f64 v[2:3], v[2:3], s[0:1]
	global_store_b128 v[16:17], v[0:3], off
	global_load_b128 v[0:3], v27, s[12:13] offset:3584
	ds_load_b128 v[4:7], v27 offset:3584
	ds_load_b128 v[8:11], v27 offset:5376
	s_waitcnt vmcnt(0) lgkmcnt(1)
	v_mul_f64 v[18:19], v[6:7], v[2:3]
	v_mul_f64 v[2:3], v[4:5], v[2:3]
	s_delay_alu instid0(VALU_DEP_2) | instskip(NEXT) | instid1(VALU_DEP_2)
	v_fma_f64 v[4:5], v[4:5], v[0:1], v[18:19]
	v_fma_f64 v[2:3], v[0:1], v[6:7], -v[2:3]
	s_delay_alu instid0(VALU_DEP_2) | instskip(NEXT) | instid1(VALU_DEP_2)
	v_mul_f64 v[0:1], v[4:5], s[0:1]
	v_mul_f64 v[2:3], v[2:3], s[0:1]
	v_add_co_u32 v4, vcc_lo, v16, s6
	v_add_co_ci_u32_e32 v5, vcc_lo, s3, v17, vcc_lo
	v_add_co_u32 v6, vcc_lo, 0x1000, v24
	v_add_co_ci_u32_e32 v7, vcc_lo, 0, v25, vcc_lo
	global_store_b128 v[4:5], v[0:3], off
	global_load_b128 v[0:3], v[6:7], off offset:1280
	s_waitcnt vmcnt(0) lgkmcnt(0)
	v_mul_f64 v[16:17], v[10:11], v[2:3]
	v_mul_f64 v[2:3], v[8:9], v[2:3]
	s_delay_alu instid0(VALU_DEP_2) | instskip(NEXT) | instid1(VALU_DEP_2)
	v_fma_f64 v[8:9], v[8:9], v[0:1], v[16:17]
	v_fma_f64 v[2:3], v[0:1], v[10:11], -v[2:3]
	v_add_co_u32 v16, vcc_lo, v4, s6
	v_add_co_ci_u32_e32 v17, vcc_lo, s3, v5, vcc_lo
	s_delay_alu instid0(VALU_DEP_4) | instskip(NEXT) | instid1(VALU_DEP_4)
	v_mul_f64 v[0:1], v[8:9], s[0:1]
	v_mul_f64 v[2:3], v[2:3], s[0:1]
	global_store_b128 v[16:17], v[0:3], off
	global_load_b128 v[0:3], v[6:7], off offset:3072
	ds_load_b128 v[4:7], v27 offset:7168
	ds_load_b128 v[8:11], v27 offset:8960
	s_waitcnt vmcnt(0) lgkmcnt(1)
	v_mul_f64 v[18:19], v[6:7], v[2:3]
	v_mul_f64 v[2:3], v[4:5], v[2:3]
	s_delay_alu instid0(VALU_DEP_2) | instskip(NEXT) | instid1(VALU_DEP_2)
	v_fma_f64 v[4:5], v[4:5], v[0:1], v[18:19]
	v_fma_f64 v[2:3], v[0:1], v[6:7], -v[2:3]
	s_delay_alu instid0(VALU_DEP_2) | instskip(NEXT) | instid1(VALU_DEP_2)
	v_mul_f64 v[0:1], v[4:5], s[0:1]
	v_mul_f64 v[2:3], v[2:3], s[0:1]
	v_add_co_u32 v4, vcc_lo, v16, s6
	v_add_co_ci_u32_e32 v5, vcc_lo, s3, v17, vcc_lo
	v_add_co_u32 v6, vcc_lo, 0x2000, v24
	v_add_co_ci_u32_e32 v7, vcc_lo, 0, v25, vcc_lo
	global_store_b128 v[4:5], v[0:3], off
	global_load_b128 v[0:3], v[6:7], off offset:768
	s_waitcnt vmcnt(0) lgkmcnt(0)
	v_mul_f64 v[16:17], v[10:11], v[2:3]
	v_mul_f64 v[2:3], v[8:9], v[2:3]
	s_delay_alu instid0(VALU_DEP_2) | instskip(NEXT) | instid1(VALU_DEP_2)
	v_fma_f64 v[8:9], v[8:9], v[0:1], v[16:17]
	v_fma_f64 v[2:3], v[0:1], v[10:11], -v[2:3]
	v_add_co_u32 v16, vcc_lo, v4, s6
	v_add_co_ci_u32_e32 v17, vcc_lo, s3, v5, vcc_lo
	s_delay_alu instid0(VALU_DEP_4) | instskip(NEXT) | instid1(VALU_DEP_4)
	v_mul_f64 v[0:1], v[8:9], s[0:1]
	v_mul_f64 v[2:3], v[2:3], s[0:1]
	global_store_b128 v[16:17], v[0:3], off
	global_load_b128 v[0:3], v[6:7], off offset:2560
	ds_load_b128 v[4:7], v27 offset:10752
	ds_load_b128 v[8:11], v27 offset:12544
	scratch_load_b32 v26, off, off offset:564 ; 4-byte Folded Reload
	s_waitcnt vmcnt(1) lgkmcnt(1)
	v_mul_f64 v[18:19], v[6:7], v[2:3]
	v_mul_f64 v[2:3], v[4:5], v[2:3]
	s_delay_alu instid0(VALU_DEP_2) | instskip(NEXT) | instid1(VALU_DEP_2)
	v_fma_f64 v[4:5], v[4:5], v[0:1], v[18:19]
	v_fma_f64 v[2:3], v[0:1], v[6:7], -v[2:3]
	s_delay_alu instid0(VALU_DEP_2) | instskip(NEXT) | instid1(VALU_DEP_2)
	v_mul_f64 v[0:1], v[4:5], s[0:1]
	v_mul_f64 v[2:3], v[2:3], s[0:1]
	v_add_co_u32 v4, vcc_lo, v16, s6
	v_add_co_ci_u32_e32 v5, vcc_lo, s3, v17, vcc_lo
	v_add_co_u32 v16, vcc_lo, 0x3000, v24
	v_add_co_ci_u32_e32 v17, vcc_lo, 0, v25, vcc_lo
	s_delay_alu instid0(VALU_DEP_4) | instskip(NEXT) | instid1(VALU_DEP_4)
	v_add_co_u32 v18, vcc_lo, v4, s6
	v_add_co_ci_u32_e32 v19, vcc_lo, s3, v5, vcc_lo
	global_store_b128 v[4:5], v[0:3], off
	global_load_b128 v[0:3], v[16:17], off offset:256
	s_waitcnt vmcnt(1)
	v_lshlrev_b32_e32 v4, 4, v26
	s_waitcnt vmcnt(0) lgkmcnt(0)
	v_mul_f64 v[6:7], v[10:11], v[2:3]
	v_mul_f64 v[2:3], v[8:9], v[2:3]
	s_delay_alu instid0(VALU_DEP_2) | instskip(NEXT) | instid1(VALU_DEP_2)
	v_fma_f64 v[6:7], v[8:9], v[0:1], v[6:7]
	v_fma_f64 v[2:3], v[0:1], v[10:11], -v[2:3]
	s_delay_alu instid0(VALU_DEP_2) | instskip(NEXT) | instid1(VALU_DEP_2)
	v_mul_f64 v[0:1], v[6:7], s[0:1]
	v_mul_f64 v[2:3], v[2:3], s[0:1]
	global_store_b128 v[18:19], v[0:3], off
	global_load_b128 v[0:3], v4, s[12:13]
	ds_load_b128 v[4:7], v27 offset:14336
	ds_load_b128 v[8:11], v27 offset:16128
	s_waitcnt vmcnt(0) lgkmcnt(1)
	v_mul_f64 v[20:21], v[6:7], v[2:3]
	v_mul_f64 v[2:3], v[4:5], v[2:3]
	s_delay_alu instid0(VALU_DEP_2) | instskip(NEXT) | instid1(VALU_DEP_2)
	v_fma_f64 v[4:5], v[4:5], v[0:1], v[20:21]
	v_fma_f64 v[2:3], v[0:1], v[6:7], -v[2:3]
	v_mad_u64_u32 v[6:7], null, s4, v26, 0
	s_delay_alu instid0(VALU_DEP_3) | instskip(NEXT) | instid1(VALU_DEP_2)
	v_mul_f64 v[0:1], v[4:5], s[0:1]
	v_mov_b32_e32 v4, v7
	s_delay_alu instid0(VALU_DEP_4) | instskip(NEXT) | instid1(VALU_DEP_2)
	v_mul_f64 v[2:3], v[2:3], s[0:1]
	v_mad_u64_u32 v[20:21], null, s5, v26, v[4:5]
	s_delay_alu instid0(VALU_DEP_1) | instskip(NEXT) | instid1(VALU_DEP_1)
	v_mov_b32_e32 v7, v20
	v_lshlrev_b64 v[4:5], 4, v[6:7]
	s_delay_alu instid0(VALU_DEP_1) | instskip(NEXT) | instid1(VALU_DEP_2)
	v_add_co_u32 v4, vcc_lo, v22, v4
	v_add_co_ci_u32_e32 v5, vcc_lo, v23, v5, vcc_lo
	global_store_b128 v[4:5], v[0:3], off
	global_load_b128 v[0:3], v[16:17], off offset:3840
	v_mad_u64_u32 v[16:17], null, 0xe00, s4, v[18:19]
	v_add_co_u32 v18, vcc_lo, 0x4000, v24
	v_add_co_ci_u32_e32 v19, vcc_lo, 0, v25, vcc_lo
	s_waitcnt vmcnt(0) lgkmcnt(0)
	v_mul_f64 v[4:5], v[10:11], v[2:3]
	v_mul_f64 v[2:3], v[8:9], v[2:3]
	s_delay_alu instid0(VALU_DEP_2) | instskip(NEXT) | instid1(VALU_DEP_2)
	v_fma_f64 v[4:5], v[8:9], v[0:1], v[4:5]
	v_fma_f64 v[2:3], v[0:1], v[10:11], -v[2:3]
	s_delay_alu instid0(VALU_DEP_2) | instskip(SKIP_1) | instid1(VALU_DEP_3)
	v_mul_f64 v[0:1], v[4:5], s[0:1]
	v_mov_b32_e32 v4, v17
	v_mul_f64 v[2:3], v[2:3], s[0:1]
	s_delay_alu instid0(VALU_DEP_2) | instskip(NEXT) | instid1(VALU_DEP_1)
	v_mad_u64_u32 v[5:6], null, 0xe00, s5, v[4:5]
	v_mov_b32_e32 v17, v5
	global_store_b128 v[16:17], v[0:3], off
	global_load_b128 v[0:3], v[18:19], off offset:1536
	ds_load_b128 v[4:7], v27 offset:17920
	ds_load_b128 v[8:11], v27 offset:19712
	s_waitcnt vmcnt(0) lgkmcnt(1)
	v_mul_f64 v[20:21], v[6:7], v[2:3]
	v_mul_f64 v[2:3], v[4:5], v[2:3]
	s_delay_alu instid0(VALU_DEP_2) | instskip(NEXT) | instid1(VALU_DEP_2)
	v_fma_f64 v[4:5], v[4:5], v[0:1], v[20:21]
	v_fma_f64 v[2:3], v[0:1], v[6:7], -v[2:3]
	s_delay_alu instid0(VALU_DEP_2) | instskip(NEXT) | instid1(VALU_DEP_2)
	v_mul_f64 v[0:1], v[4:5], s[0:1]
	v_mul_f64 v[2:3], v[2:3], s[0:1]
	v_add_co_u32 v4, vcc_lo, v16, s6
	v_add_co_ci_u32_e32 v5, vcc_lo, s3, v17, vcc_lo
	s_delay_alu instid0(VALU_DEP_2) | instskip(NEXT) | instid1(VALU_DEP_2)
	v_add_co_u32 v16, vcc_lo, v4, s6
	v_add_co_ci_u32_e32 v17, vcc_lo, s3, v5, vcc_lo
	global_store_b128 v[4:5], v[0:3], off
	global_load_b128 v[0:3], v[18:19], off offset:3328
	v_add_co_u32 v18, vcc_lo, 0x5000, v24
	v_add_co_ci_u32_e32 v19, vcc_lo, 0, v25, vcc_lo
	s_waitcnt vmcnt(0) lgkmcnt(0)
	v_mul_f64 v[6:7], v[10:11], v[2:3]
	v_mul_f64 v[2:3], v[8:9], v[2:3]
	s_delay_alu instid0(VALU_DEP_2) | instskip(NEXT) | instid1(VALU_DEP_2)
	v_fma_f64 v[6:7], v[8:9], v[0:1], v[6:7]
	v_fma_f64 v[2:3], v[0:1], v[10:11], -v[2:3]
	s_delay_alu instid0(VALU_DEP_2) | instskip(NEXT) | instid1(VALU_DEP_2)
	v_mul_f64 v[0:1], v[6:7], s[0:1]
	v_mul_f64 v[2:3], v[2:3], s[0:1]
	global_store_b128 v[16:17], v[0:3], off
	global_load_b128 v[0:3], v[18:19], off offset:1024
	ds_load_b128 v[4:7], v27 offset:21504
	ds_load_b128 v[8:11], v27 offset:23296
	s_waitcnt vmcnt(0) lgkmcnt(1)
	v_mul_f64 v[20:21], v[6:7], v[2:3]
	v_mul_f64 v[2:3], v[4:5], v[2:3]
	s_delay_alu instid0(VALU_DEP_2) | instskip(NEXT) | instid1(VALU_DEP_2)
	v_fma_f64 v[4:5], v[4:5], v[0:1], v[20:21]
	v_fma_f64 v[2:3], v[0:1], v[6:7], -v[2:3]
	s_delay_alu instid0(VALU_DEP_2) | instskip(NEXT) | instid1(VALU_DEP_2)
	v_mul_f64 v[0:1], v[4:5], s[0:1]
	v_mul_f64 v[2:3], v[2:3], s[0:1]
	v_add_co_u32 v4, vcc_lo, v16, s6
	v_add_co_ci_u32_e32 v5, vcc_lo, s3, v17, vcc_lo
	s_delay_alu instid0(VALU_DEP_2) | instskip(NEXT) | instid1(VALU_DEP_2)
	v_add_co_u32 v16, vcc_lo, v4, s6
	v_add_co_ci_u32_e32 v17, vcc_lo, s3, v5, vcc_lo
	global_store_b128 v[4:5], v[0:3], off
	global_load_b128 v[0:3], v[18:19], off offset:2816
	v_add_co_u32 v18, vcc_lo, 0x6000, v24
	v_add_co_ci_u32_e32 v19, vcc_lo, 0, v25, vcc_lo
	s_waitcnt vmcnt(0) lgkmcnt(0)
	v_mul_f64 v[6:7], v[10:11], v[2:3]
	v_mul_f64 v[2:3], v[8:9], v[2:3]
	s_delay_alu instid0(VALU_DEP_2) | instskip(NEXT) | instid1(VALU_DEP_2)
	v_fma_f64 v[6:7], v[8:9], v[0:1], v[6:7]
	v_fma_f64 v[2:3], v[0:1], v[10:11], -v[2:3]
	s_delay_alu instid0(VALU_DEP_2) | instskip(NEXT) | instid1(VALU_DEP_2)
	v_mul_f64 v[0:1], v[6:7], s[0:1]
	v_mul_f64 v[2:3], v[2:3], s[0:1]
	global_store_b128 v[16:17], v[0:3], off
	global_load_b128 v[0:3], v[18:19], off offset:512
	ds_load_b128 v[4:7], v27 offset:25088
	ds_load_b128 v[8:11], v27 offset:26880
	s_waitcnt vmcnt(0) lgkmcnt(1)
	v_mul_f64 v[20:21], v[6:7], v[2:3]
	v_mul_f64 v[2:3], v[4:5], v[2:3]
	s_delay_alu instid0(VALU_DEP_2) | instskip(NEXT) | instid1(VALU_DEP_2)
	v_fma_f64 v[4:5], v[4:5], v[0:1], v[20:21]
	v_fma_f64 v[2:3], v[0:1], v[6:7], -v[2:3]
	s_delay_alu instid0(VALU_DEP_2) | instskip(NEXT) | instid1(VALU_DEP_2)
	v_mul_f64 v[0:1], v[4:5], s[0:1]
	v_mul_f64 v[2:3], v[2:3], s[0:1]
	v_add_co_u32 v4, vcc_lo, v16, s6
	v_add_co_ci_u32_e32 v5, vcc_lo, s3, v17, vcc_lo
	global_store_b128 v[4:5], v[0:3], off
	global_load_b128 v[0:3], v[18:19], off offset:2304
	v_add_co_u32 v4, vcc_lo, v4, s6
	v_add_co_ci_u32_e32 v5, vcc_lo, s3, v5, vcc_lo
	s_waitcnt vmcnt(0) lgkmcnt(0)
	v_mul_f64 v[6:7], v[10:11], v[2:3]
	v_mul_f64 v[2:3], v[8:9], v[2:3]
	s_delay_alu instid0(VALU_DEP_2) | instskip(SKIP_3) | instid1(VALU_DEP_2)
	v_fma_f64 v[6:7], v[8:9], v[0:1], v[6:7]
	scratch_load_b32 v9, off, off offset:560 ; 4-byte Folded Reload
	v_fma_f64 v[2:3], v[0:1], v[10:11], -v[2:3]
	v_mul_f64 v[0:1], v[6:7], s[0:1]
	v_mul_f64 v[2:3], v[2:3], s[0:1]
	global_store_b128 v[4:5], v[0:3], off
	s_waitcnt vmcnt(0)
	v_lshlrev_b32_e32 v6, 4, v9
	global_load_b128 v[0:3], v6, s[12:13]
	v_mad_u64_u32 v[6:7], null, s4, v9, 0
	s_waitcnt vmcnt(0)
	v_mul_f64 v[4:5], v[14:15], v[2:3]
	v_mul_f64 v[2:3], v[12:13], v[2:3]
	s_delay_alu instid0(VALU_DEP_2) | instskip(NEXT) | instid1(VALU_DEP_2)
	v_fma_f64 v[4:5], v[12:13], v[0:1], v[4:5]
	v_fma_f64 v[2:3], v[0:1], v[14:15], -v[2:3]
	s_delay_alu instid0(VALU_DEP_2) | instskip(SKIP_1) | instid1(VALU_DEP_3)
	v_mul_f64 v[0:1], v[4:5], s[0:1]
	v_mov_b32_e32 v4, v7
	v_mul_f64 v[2:3], v[2:3], s[0:1]
	s_delay_alu instid0(VALU_DEP_2) | instskip(NEXT) | instid1(VALU_DEP_1)
	v_mad_u64_u32 v[7:8], null, s5, v9, v[4:5]
	v_lshlrev_b64 v[4:5], 4, v[6:7]
	s_delay_alu instid0(VALU_DEP_1) | instskip(NEXT) | instid1(VALU_DEP_2)
	v_add_co_u32 v4, vcc_lo, v22, v4
	v_add_co_ci_u32_e32 v5, vcc_lo, v23, v5, vcc_lo
	global_store_b128 v[4:5], v[0:3], off
.LBB0_23:
	s_endpgm
	.section	.rodata,"a",@progbits
	.p2align	6, 0x0
	.amdhsa_kernel bluestein_single_back_len1904_dim1_dp_op_CI_CI
		.amdhsa_group_segment_fixed_size 30464
		.amdhsa_private_segment_fixed_size 836
		.amdhsa_kernarg_size 104
		.amdhsa_user_sgpr_count 15
		.amdhsa_user_sgpr_dispatch_ptr 0
		.amdhsa_user_sgpr_queue_ptr 0
		.amdhsa_user_sgpr_kernarg_segment_ptr 1
		.amdhsa_user_sgpr_dispatch_id 0
		.amdhsa_user_sgpr_private_segment_size 0
		.amdhsa_wavefront_size32 1
		.amdhsa_uses_dynamic_stack 0
		.amdhsa_enable_private_segment 1
		.amdhsa_system_sgpr_workgroup_id_x 1
		.amdhsa_system_sgpr_workgroup_id_y 0
		.amdhsa_system_sgpr_workgroup_id_z 0
		.amdhsa_system_sgpr_workgroup_info 0
		.amdhsa_system_vgpr_workitem_id 0
		.amdhsa_next_free_vgpr 256
		.amdhsa_next_free_sgpr 58
		.amdhsa_reserve_vcc 1
		.amdhsa_float_round_mode_32 0
		.amdhsa_float_round_mode_16_64 0
		.amdhsa_float_denorm_mode_32 3
		.amdhsa_float_denorm_mode_16_64 3
		.amdhsa_dx10_clamp 1
		.amdhsa_ieee_mode 1
		.amdhsa_fp16_overflow 0
		.amdhsa_workgroup_processor_mode 1
		.amdhsa_memory_ordered 1
		.amdhsa_forward_progress 0
		.amdhsa_shared_vgpr_count 0
		.amdhsa_exception_fp_ieee_invalid_op 0
		.amdhsa_exception_fp_denorm_src 0
		.amdhsa_exception_fp_ieee_div_zero 0
		.amdhsa_exception_fp_ieee_overflow 0
		.amdhsa_exception_fp_ieee_underflow 0
		.amdhsa_exception_fp_ieee_inexact 0
		.amdhsa_exception_int_div_zero 0
	.end_amdhsa_kernel
	.text
.Lfunc_end0:
	.size	bluestein_single_back_len1904_dim1_dp_op_CI_CI, .Lfunc_end0-bluestein_single_back_len1904_dim1_dp_op_CI_CI
                                        ; -- End function
	.section	.AMDGPU.csdata,"",@progbits
; Kernel info:
; codeLenInByte = 35536
; NumSgprs: 60
; NumVgprs: 256
; ScratchSize: 836
; MemoryBound: 0
; FloatMode: 240
; IeeeMode: 1
; LDSByteSize: 30464 bytes/workgroup (compile time only)
; SGPRBlocks: 7
; VGPRBlocks: 31
; NumSGPRsForWavesPerEU: 60
; NumVGPRsForWavesPerEU: 256
; Occupancy: 4
; WaveLimiterHint : 1
; COMPUTE_PGM_RSRC2:SCRATCH_EN: 1
; COMPUTE_PGM_RSRC2:USER_SGPR: 15
; COMPUTE_PGM_RSRC2:TRAP_HANDLER: 0
; COMPUTE_PGM_RSRC2:TGID_X_EN: 1
; COMPUTE_PGM_RSRC2:TGID_Y_EN: 0
; COMPUTE_PGM_RSRC2:TGID_Z_EN: 0
; COMPUTE_PGM_RSRC2:TIDIG_COMP_CNT: 0
	.text
	.p2alignl 7, 3214868480
	.fill 96, 4, 3214868480
	.type	__hip_cuid_dc5dc176342d491d,@object ; @__hip_cuid_dc5dc176342d491d
	.section	.bss,"aw",@nobits
	.globl	__hip_cuid_dc5dc176342d491d
__hip_cuid_dc5dc176342d491d:
	.byte	0                               ; 0x0
	.size	__hip_cuid_dc5dc176342d491d, 1

	.ident	"AMD clang version 19.0.0git (https://github.com/RadeonOpenCompute/llvm-project roc-6.4.0 25133 c7fe45cf4b819c5991fe208aaa96edf142730f1d)"
	.section	".note.GNU-stack","",@progbits
	.addrsig
	.addrsig_sym __hip_cuid_dc5dc176342d491d
	.amdgpu_metadata
---
amdhsa.kernels:
  - .args:
      - .actual_access:  read_only
        .address_space:  global
        .offset:         0
        .size:           8
        .value_kind:     global_buffer
      - .actual_access:  read_only
        .address_space:  global
        .offset:         8
        .size:           8
        .value_kind:     global_buffer
      - .actual_access:  read_only
        .address_space:  global
        .offset:         16
        .size:           8
        .value_kind:     global_buffer
      - .actual_access:  read_only
        .address_space:  global
        .offset:         24
        .size:           8
        .value_kind:     global_buffer
      - .actual_access:  read_only
        .address_space:  global
        .offset:         32
        .size:           8
        .value_kind:     global_buffer
      - .offset:         40
        .size:           8
        .value_kind:     by_value
      - .address_space:  global
        .offset:         48
        .size:           8
        .value_kind:     global_buffer
      - .address_space:  global
        .offset:         56
        .size:           8
        .value_kind:     global_buffer
      - .address_space:  global
        .offset:         64
        .size:           8
        .value_kind:     global_buffer
      - .address_space:  global
        .offset:         72
        .size:           8
        .value_kind:     global_buffer
      - .offset:         80
        .size:           4
        .value_kind:     by_value
      - .address_space:  global
        .offset:         88
        .size:           8
        .value_kind:     global_buffer
      - .address_space:  global
        .offset:         96
        .size:           8
        .value_kind:     global_buffer
    .group_segment_fixed_size: 30464
    .kernarg_segment_align: 8
    .kernarg_segment_size: 104
    .language:       OpenCL C
    .language_version:
      - 2
      - 0
    .max_flat_workgroup_size: 119
    .name:           bluestein_single_back_len1904_dim1_dp_op_CI_CI
    .private_segment_fixed_size: 836
    .sgpr_count:     60
    .sgpr_spill_count: 0
    .symbol:         bluestein_single_back_len1904_dim1_dp_op_CI_CI.kd
    .uniform_work_group_size: 1
    .uses_dynamic_stack: false
    .vgpr_count:     256
    .vgpr_spill_count: 212
    .wavefront_size: 32
    .workgroup_processor_mode: 1
amdhsa.target:   amdgcn-amd-amdhsa--gfx1100
amdhsa.version:
  - 1
  - 2
...

	.end_amdgpu_metadata
